;; amdgpu-corpus repo=ROCm/rocFFT kind=compiled arch=gfx1030 opt=O3
	.text
	.amdgcn_target "amdgcn-amd-amdhsa--gfx1030"
	.amdhsa_code_object_version 6
	.protected	bluestein_single_back_len1080_dim1_half_op_CI_CI ; -- Begin function bluestein_single_back_len1080_dim1_half_op_CI_CI
	.globl	bluestein_single_back_len1080_dim1_half_op_CI_CI
	.p2align	8
	.type	bluestein_single_back_len1080_dim1_half_op_CI_CI,@function
bluestein_single_back_len1080_dim1_half_op_CI_CI: ; @bluestein_single_back_len1080_dim1_half_op_CI_CI
; %bb.0:
	s_load_dwordx4 s[12:15], s[4:5], 0x28
	v_mul_u32_u24_e32 v1, 0x25f, v0
	v_mov_b32_e32 v21, 0
	s_mov_b32 s0, exec_lo
	v_lshrrev_b32_e32 v2, 16, v1
	v_lshl_add_u32 v20, s6, 1, v2
	s_waitcnt lgkmcnt(0)
	v_cmpx_gt_u64_e64 s[12:13], v[20:21]
	s_cbranch_execz .LBB0_31
; %bb.1:
	s_clause 0x1
	s_load_dwordx4 s[8:11], s[4:5], 0x18
	s_load_dwordx2 s[6:7], s[4:5], 0x0
	v_mul_lo_u16 v1, 0x6c, v2
	v_sub_nc_u16 v8, v0, v1
	v_and_b32_e32 v43, 0xffff, v8
	v_lshlrev_b32_e32 v37, 2, v43
	s_waitcnt lgkmcnt(0)
	s_load_dwordx4 s[0:3], s[8:9], 0x0
	s_clause 0x2
	global_load_dword v44, v37, s[6:7]
	global_load_dword v45, v37, s[6:7] offset:720
	global_load_dword v42, v37, s[6:7] offset:1440
	s_waitcnt lgkmcnt(0)
	v_mad_u64_u32 v[0:1], null, s2, v20, 0
	v_mad_u64_u32 v[3:4], null, s0, v43, 0
	v_add_co_u32 v18, s2, s6, v37
	v_add_co_ci_u32_e64 v19, null, s7, 0, s2
	v_mad_u64_u32 v[5:6], null, s3, v20, v[1:2]
	v_add_co_u32 v16, vcc_lo, 0x800, v18
	v_add_co_ci_u32_e32 v17, vcc_lo, 0, v19, vcc_lo
	s_mul_i32 s3, s1, 0xb4
	s_mul_hi_u32 s6, s0, 0xb4
	v_mad_u64_u32 v[6:7], null, s1, v43, v[4:5]
	v_mov_b32_e32 v1, v5
	s_mul_i32 s2, s0, 0xb4
	s_add_i32 s3, s6, s3
	v_and_b32_e32 v2, 1, v2
	s_lshl_b64 s[6:7], s[2:3], 2
	v_lshlrev_b64 v[0:1], 2, v[0:1]
	v_mov_b32_e32 v4, v6
	v_add_co_u32 v0, vcc_lo, s14, v0
	v_lshlrev_b64 v[3:4], 2, v[3:4]
	v_add_co_ci_u32_e32 v1, vcc_lo, s15, v1, vcc_lo
	v_add_co_u32 v0, vcc_lo, v0, v3
	v_add_co_ci_u32_e32 v1, vcc_lo, v1, v4, vcc_lo
	v_add_co_u32 v3, vcc_lo, v0, s6
	v_add_co_ci_u32_e32 v4, vcc_lo, s7, v1, vcc_lo
	s_clause 0x1
	global_load_dword v7, v[0:1], off
	global_load_dword v9, v[3:4], off
	v_add_co_u32 v0, vcc_lo, v3, s6
	v_add_co_ci_u32_e32 v1, vcc_lo, s7, v4, vcc_lo
	v_add_co_u32 v3, vcc_lo, v0, s6
	v_add_co_ci_u32_e32 v4, vcc_lo, s7, v1, vcc_lo
	global_load_dword v10, v[0:1], off
	v_add_co_u32 v5, vcc_lo, v3, s6
	global_load_dword v3, v[3:4], off
	v_add_co_ci_u32_e32 v6, vcc_lo, s7, v4, vcc_lo
	v_add_co_u32 v0, vcc_lo, v5, s6
	v_add_co_ci_u32_e32 v1, vcc_lo, s7, v6, vcc_lo
	global_load_dword v41, v[16:17], off offset:112
	global_load_dword v4, v[5:6], off
	global_load_dword v5, v[0:1], off
	s_clause 0x1
	global_load_dword v40, v[16:17], off offset:832
	global_load_dword v39, v[16:17], off offset:1552
	v_cmp_eq_u32_e32 vcc_lo, 1, v2
	s_load_dwordx2 s[2:3], s[4:5], 0x38
	s_load_dwordx4 s[8:11], s[10:11], 0x0
	v_cndmask_b32_e64 v56, 0, 0x438, vcc_lo
	v_cmp_gt_u16_e32 vcc_lo, 0x48, v8
	v_lshlrev_b32_e32 v46, 2, v56
	v_add_nc_u32_e32 v38, v46, v37
	v_add_nc_u32_e32 v2, 0x500, v38
	s_waitcnt vmcnt(8)
	v_lshrrev_b32_e32 v6, 16, v7
	v_mul_f16_sdwa v11, v44, v7 dst_sel:DWORD dst_unused:UNUSED_PAD src0_sel:WORD_1 src1_sel:DWORD
	s_waitcnt vmcnt(7)
	v_lshrrev_b32_e32 v13, 16, v9
	v_mul_f16_sdwa v14, v45, v9 dst_sel:DWORD dst_unused:UNUSED_PAD src0_sel:WORD_1 src1_sel:DWORD
	v_mul_f16_sdwa v12, v44, v6 dst_sel:DWORD dst_unused:UNUSED_PAD src0_sel:WORD_1 src1_sel:DWORD
	v_fma_f16 v6, v44, v6, -v11
	v_mul_f16_sdwa v11, v45, v13 dst_sel:DWORD dst_unused:UNUSED_PAD src0_sel:WORD_1 src1_sel:DWORD
	v_fma_f16 v13, v45, v13, -v14
	v_fmac_f16_e32 v12, v44, v7
	s_waitcnt vmcnt(6)
	v_lshrrev_b32_e32 v7, 16, v10
	v_mul_f16_sdwa v14, v42, v10 dst_sel:DWORD dst_unused:UNUSED_PAD src0_sel:WORD_1 src1_sel:DWORD
	v_pack_b32_f16 v6, v12, v6
	v_fmac_f16_e32 v11, v45, v9
	s_waitcnt vmcnt(5)
	v_lshrrev_b32_e32 v9, 16, v3
	v_mul_f16_sdwa v12, v42, v7 dst_sel:DWORD dst_unused:UNUSED_PAD src0_sel:WORD_1 src1_sel:DWORD
	v_fma_f16 v7, v42, v7, -v14
	s_waitcnt vmcnt(4)
	v_mul_f16_sdwa v14, v41, v3 dst_sel:DWORD dst_unused:UNUSED_PAD src0_sel:WORD_1 src1_sel:DWORD
	v_mul_f16_sdwa v15, v41, v9 dst_sel:DWORD dst_unused:UNUSED_PAD src0_sel:WORD_1 src1_sel:DWORD
	v_fmac_f16_e32 v12, v42, v10
	s_waitcnt vmcnt(3)
	v_lshrrev_b32_e32 v10, 16, v4
	s_waitcnt vmcnt(2)
	v_lshrrev_b32_e32 v21, 16, v5
	v_fma_f16 v9, v41, v9, -v14
	s_waitcnt vmcnt(1)
	v_mul_f16_sdwa v14, v40, v4 dst_sel:DWORD dst_unused:UNUSED_PAD src0_sel:WORD_1 src1_sel:DWORD
	s_waitcnt vmcnt(0)
	v_mul_f16_sdwa v23, v39, v5 dst_sel:DWORD dst_unused:UNUSED_PAD src0_sel:WORD_1 src1_sel:DWORD
	v_mul_f16_sdwa v22, v40, v10 dst_sel:DWORD dst_unused:UNUSED_PAD src0_sel:WORD_1 src1_sel:DWORD
	;; [unrolled: 1-line block ×3, first 2 shown]
	v_fmac_f16_e32 v15, v41, v3
	v_fma_f16 v3, v40, v10, -v14
	v_pack_b32_f16 v7, v12, v7
	v_fmac_f16_e32 v22, v40, v4
	v_fma_f16 v4, v39, v21, -v23
	v_fmac_f16_e32 v24, v39, v5
	v_pack_b32_f16 v5, v11, v13
	v_pack_b32_f16 v9, v15, v9
	;; [unrolled: 1-line block ×3, first 2 shown]
	v_add_nc_u32_e32 v3, 0xb00, v38
	v_pack_b32_f16 v4, v24, v4
	ds_write2_b32 v38, v6, v5 offset1:180
	ds_write2_b32 v2, v7, v9 offset0:40 offset1:220
	ds_write2_b32 v3, v10, v4 offset0:16 offset1:196
	s_and_saveexec_b32 s12, vcc_lo
	s_cbranch_execz .LBB0_3
; %bb.2:
	v_mad_u64_u32 v[0:1], null, 0xfffff3a0, s0, v[0:1]
	s_mulk_i32 s1, 0xf3a0
	s_clause 0x2
	global_load_dword v6, v[18:19], off offset:432
	global_load_dword v7, v[18:19], off offset:1152
	;; [unrolled: 1-line block ×3, first 2 shown]
	s_sub_i32 s0, s1, s0
	v_add_nc_u32_e32 v15, 0x100, v38
	v_add_nc_u32_e32 v23, 0x700, v38
	;; [unrolled: 1-line block ×3, first 2 shown]
	v_add_co_u32 v4, s0, v0, s6
	v_add_co_ci_u32_e64 v5, s0, s7, v1, s0
	global_load_dword v9, v[0:1], off
	v_add_co_u32 v0, s0, v4, s6
	v_add_co_ci_u32_e64 v1, s0, s7, v5, s0
	global_load_dword v10, v[4:5], off
	v_add_co_u32 v4, s0, v0, s6
	v_add_co_ci_u32_e64 v5, s0, s7, v1, s0
	global_load_dword v11, v[0:1], off
	v_add_co_u32 v0, s0, v4, s6
	v_add_co_ci_u32_e64 v1, s0, s7, v5, s0
	global_load_dword v12, v[4:5], off
	v_add_co_u32 v4, s0, v0, s6
	v_add_co_ci_u32_e64 v5, s0, s7, v1, s0
	global_load_dword v13, v[16:17], off offset:544
	global_load_dword v0, v[0:1], off
	global_load_dword v1, v[4:5], off
	s_clause 0x1
	global_load_dword v4, v[16:17], off offset:1264
	global_load_dword v5, v[16:17], off offset:1984
	s_waitcnt vmcnt(8)
	v_lshrrev_b32_e32 v14, 16, v9
	v_mul_f16_sdwa v21, v6, v9 dst_sel:DWORD dst_unused:UNUSED_PAD src0_sel:WORD_1 src1_sel:DWORD
	v_mul_f16_sdwa v22, v6, v14 dst_sel:DWORD dst_unused:UNUSED_PAD src0_sel:WORD_1 src1_sel:DWORD
	s_waitcnt vmcnt(7)
	v_lshrrev_b32_e32 v24, 16, v10
	v_mul_f16_sdwa v25, v7, v10 dst_sel:DWORD dst_unused:UNUSED_PAD src0_sel:WORD_1 src1_sel:DWORD
	v_fma_f16 v14, v6, v14, -v21
	v_fmac_f16_e32 v22, v6, v9
	s_waitcnt vmcnt(6)
	v_lshrrev_b32_e32 v6, 16, v11
	v_mul_f16_sdwa v9, v7, v24 dst_sel:DWORD dst_unused:UNUSED_PAD src0_sel:WORD_1 src1_sel:DWORD
	v_fma_f16 v21, v7, v24, -v25
	v_mul_f16_sdwa v24, v8, v11 dst_sel:DWORD dst_unused:UNUSED_PAD src0_sel:WORD_1 src1_sel:DWORD
	v_pack_b32_f16 v14, v22, v14
	v_mul_f16_sdwa v22, v8, v6 dst_sel:DWORD dst_unused:UNUSED_PAD src0_sel:WORD_1 src1_sel:DWORD
	v_fmac_f16_e32 v9, v7, v10
	s_waitcnt vmcnt(5)
	v_lshrrev_b32_e32 v7, 16, v12
	v_fma_f16 v6, v8, v6, -v24
	s_waitcnt vmcnt(4)
	v_mul_f16_sdwa v10, v13, v12 dst_sel:DWORD dst_unused:UNUSED_PAD src0_sel:WORD_1 src1_sel:DWORD
	v_fmac_f16_e32 v22, v8, v11
	s_waitcnt vmcnt(3)
	v_lshrrev_b32_e32 v8, 16, v0
	s_waitcnt vmcnt(2)
	v_lshrrev_b32_e32 v24, 16, v1
	v_mul_f16_sdwa v11, v13, v7 dst_sel:DWORD dst_unused:UNUSED_PAD src0_sel:WORD_1 src1_sel:DWORD
	v_fma_f16 v7, v13, v7, -v10
	s_waitcnt vmcnt(1)
	v_mul_f16_sdwa v10, v4, v0 dst_sel:DWORD dst_unused:UNUSED_PAD src0_sel:WORD_1 src1_sel:DWORD
	v_mul_f16_sdwa v25, v4, v8 dst_sel:DWORD dst_unused:UNUSED_PAD src0_sel:WORD_1 src1_sel:DWORD
	s_waitcnt vmcnt(0)
	v_mul_f16_sdwa v26, v5, v1 dst_sel:DWORD dst_unused:UNUSED_PAD src0_sel:WORD_1 src1_sel:DWORD
	v_mul_f16_sdwa v27, v5, v24 dst_sel:DWORD dst_unused:UNUSED_PAD src0_sel:WORD_1 src1_sel:DWORD
	v_fmac_f16_e32 v11, v13, v12
	v_fma_f16 v8, v4, v8, -v10
	v_fmac_f16_e32 v25, v4, v0
	v_fma_f16 v0, v5, v24, -v26
	v_fmac_f16_e32 v27, v5, v1
	v_pack_b32_f16 v1, v9, v21
	v_pack_b32_f16 v4, v22, v6
	;; [unrolled: 1-line block ×5, first 2 shown]
	v_add_nc_u32_e32 v7, 0xc00, v38
	ds_write2_b32 v15, v14, v1 offset0:44 offset1:224
	ds_write2_b32 v23, v4, v5 offset0:20 offset1:200
	;; [unrolled: 1-line block ×3, first 2 shown]
.LBB0_3:
	s_or_b32 exec_lo, exec_lo, s12
	s_waitcnt lgkmcnt(0)
	s_barrier
	buffer_gl0_inv
	ds_read2_b32 v[8:9], v38 offset1:180
	ds_read2_b32 v[10:11], v2 offset0:40 offset1:220
	ds_read2_b32 v[6:7], v3 offset0:16 offset1:196
                                        ; implicit-def: $vgpr2
                                        ; implicit-def: $vgpr4
                                        ; implicit-def: $vgpr0
	s_and_saveexec_b32 s0, vcc_lo
	s_cbranch_execz .LBB0_5
; %bb.4:
	v_add_nc_u32_e32 v0, 0x100, v38
	v_add_nc_u32_e32 v1, 0x700, v38
	;; [unrolled: 1-line block ×3, first 2 shown]
	ds_read2_b32 v[2:3], v0 offset0:44 offset1:224
	ds_read2_b32 v[4:5], v1 offset0:20 offset1:200
	;; [unrolled: 1-line block ×3, first 2 shown]
.LBB0_5:
	s_or_b32 exec_lo, exec_lo, s0
	s_waitcnt lgkmcnt(0)
	v_pk_add_f16 v12, v5, v1
	v_pk_add_f16 v14, v5, v1 neg_lo:[0,1] neg_hi:[0,1]
	v_pk_add_f16 v27, v11, v7
	v_pk_add_f16 v13, v4, v0
	v_pk_add_f16 v15, v4, v0 neg_lo:[0,1] neg_hi:[0,1]
	v_pk_fma_f16 v12, v12, 0.5, v3 op_sel_hi:[1,0,1] neg_lo:[1,0,0] neg_hi:[1,0,0]
	v_pk_add_f16 v25, v9, v11
	v_pk_add_f16 v28, v11, v7 neg_lo:[0,1] neg_hi:[0,1]
	v_pk_fma_f16 v9, v27, 0.5, v9 op_sel_hi:[1,0,1] neg_lo:[1,0,0] neg_hi:[1,0,0]
	v_pk_fma_f16 v13, v13, 0.5, v2 op_sel_hi:[1,0,1] neg_lo:[1,0,0] neg_hi:[1,0,0]
	v_pk_fma_f16 v21, 0x3aee, v14, v12 op_sel:[0,0,1] op_sel_hi:[0,1,0]
	v_pk_fma_f16 v22, 0x3aee, v14, v12 op_sel:[0,0,1] op_sel_hi:[0,1,0] neg_lo:[0,1,0] neg_hi:[0,1,0]
	v_pk_mul_f16 v14, 0x3aee, v15 op_sel_hi:[0,1]
	v_pk_fma_f16 v27, 0x3aee, v28, v9 op_sel:[0,0,1] op_sel_hi:[0,1,0]
	v_pk_fma_f16 v9, 0x3aee, v28, v9 op_sel:[0,0,1] op_sel_hi:[0,1,0] neg_lo:[0,1,0] neg_hi:[0,1,0]
	v_pk_add_f16 v24, v8, v10
	v_bfi_b32 v26, 0xffff, v21, v22
	v_pk_add_f16 v12, v13, v14 op_sel:[0,1] op_sel_hi:[1,0]
	v_pk_add_f16 v13, v13, v14 op_sel:[0,1] op_sel_hi:[1,0] neg_lo:[0,1] neg_hi:[0,1]
	v_pk_add_f16 v28, v10, v6
	v_pk_add_f16 v10, v10, v6 neg_lo:[0,1] neg_hi:[0,1]
	v_pk_mul_f16 v14, v26, 0.5 op_sel_hi:[1,0]
	v_lshrrev_b32_e32 v29, 16, v27
	v_bfi_b32 v27, 0xffff, v27, v9
	v_pk_add_f16 v24, v24, v6
	v_pk_fma_f16 v6, v28, 0.5, v8 op_sel_hi:[1,0,1] neg_lo:[1,0,0] neg_hi:[1,0,0]
	v_pk_fma_f16 v14, 0xbaee3aee, v26, v14 op_sel:[0,0,1] op_sel_hi:[1,1,0] neg_lo:[0,0,1] neg_hi:[0,0,1]
	v_mul_lo_u16 v26, v43, 6
	v_pk_mul_f16 v8, 0x3aee, v10 op_sel_hi:[0,1]
	v_mul_f16_e32 v10, 0xbaee, v29
	v_pk_mul_f16 v28, v27, 0.5 op_sel_hi:[1,0]
	s_load_dwordx2 s[4:5], s[4:5], 0x8
	v_lshrrev_b32_e32 v21, 16, v21
	v_pk_add_f16 v7, v25, v7
	v_mul_f16_e32 v25, 0x3aee, v9
	v_and_b32_e32 v26, 0xffff, v26
	v_fmac_f16_e32 v10, 0.5, v9
	v_pk_fma_f16 v9, 0xbaee3aee, v27, v28 op_sel:[0,0,1] op_sel_hi:[1,1,0] neg_lo:[0,0,1] neg_hi:[0,0,1]
	v_bfi_b32 v11, 0xffff, v13, v12
	v_mul_f16_e32 v15, 0x3aee, v22
	v_mul_f16_e32 v23, 0xbaee, v21
	v_pk_add_f16 v30, v6, v8 op_sel:[0,1] op_sel_hi:[1,0]
	v_pk_add_f16 v8, v6, v8 op_sel:[0,1] op_sel_hi:[1,0] neg_lo:[0,1] neg_hi:[0,1]
	v_fmac_f16_e32 v25, 0.5, v29
	v_lshl_add_u32 v52, v26, 2, v46
	v_pack_b32_f16 v26, v10, v9
	v_add_co_u32 v57, null, 0x6c, v43
	v_fmac_f16_e32 v15, 0.5, v21
	v_fmac_f16_e32 v23, 0.5, v22
	v_pk_add_f16 v22, v11, v14 neg_lo:[0,1] neg_hi:[0,1]
	v_bfi_b32 v27, 0xffff, v8, v30
	v_add_f16_e32 v28, v30, v25
	v_add_f16_sdwa v10, v8, v10 dst_sel:DWORD dst_unused:UNUSED_PAD src0_sel:WORD_1 src1_sel:DWORD
	v_sub_f16_sdwa v29, v30, v9 dst_sel:DWORD dst_unused:UNUSED_PAD src0_sel:WORD_1 src1_sel:WORD_1
	v_pk_add_f16 v26, v8, v26 op_sel:[1,0] op_sel_hi:[0,1] neg_lo:[0,1] neg_hi:[0,1]
	v_sub_f16_e32 v30, v30, v25
	v_sub_f16_e32 v21, v12, v15
	v_sub_f16_sdwa v33, v13, v23 dst_sel:DWORD dst_unused:UNUSED_PAD src0_sel:WORD_1 src1_sel:DWORD
	v_lshrrev_b32_e32 v34, 16, v22
	v_pk_add_f16 v6, v24, v7
	v_pk_add_f16 v8, v27, v9
	v_pk_add_f16 v9, v24, v7 neg_lo:[0,1] neg_hi:[0,1]
	v_pack_b32_f16 v7, v28, v10
	v_mul_u32_u24_e32 v51, 6, v57
	v_alignbit_b32 v25, v29, v26, 16
	v_pack_b32_f16 v24, v30, v26
	s_waitcnt lgkmcnt(0)
	s_barrier
	buffer_gl0_inv
	ds_write2_b64 v52, v[6:7], v[8:9] offset1:1
	ds_write_b64 v52, v[24:25] offset:16
	s_and_saveexec_b32 s0, vcc_lo
	s_cbranch_execz .LBB0_7
; %bb.6:
	v_pk_add_f16 v2, v2, v4
	v_pk_add_f16 v3, v3, v5
	v_add_f16_sdwa v4, v13, v23 dst_sel:DWORD dst_unused:UNUSED_PAD src0_sel:WORD_1 src1_sel:DWORD
	v_add_f16_e32 v5, v12, v15
	v_lshl_add_u32 v7, v51, 2, v46
	v_pk_add_f16 v6, v2, v0
	v_pk_add_f16 v1, v3, v1
	;; [unrolled: 1-line block ×3, first 2 shown]
	v_pack_b32_f16 v3, v5, v4
	v_perm_b32 v5, v34, v22, 0x5040100
	v_perm_b32 v4, v33, v21, 0x5040100
	v_pk_add_f16 v2, v6, v1
	v_pk_add_f16 v1, v6, v1 neg_lo:[0,1] neg_hi:[0,1]
	ds_write2_b64 v7, v[2:3], v[0:1] offset1:1
	ds_write_b64 v7, v[4:5] offset:16
.LBB0_7:
	s_or_b32 exec_lo, exec_lo, s0
	v_and_b32_e32 v0, 0xff, v43
	s_waitcnt lgkmcnt(0)
	s_barrier
	buffer_gl0_inv
	v_add_nc_u32_e32 v13, 0x600, v38
	v_mul_lo_u16 v0, 0xab, v0
	v_add_nc_u32_e32 v23, 0x800, v38
	v_mov_b32_e32 v28, 60
	v_add_nc_u32_e32 v29, 0x500, v38
	v_add_nc_u32_e32 v30, 0xb00, v38
	v_lshrrev_b16 v15, 10, v0
	v_mul_lo_u16 v0, v15, 6
	v_mul_u32_u24_sdwa v15, v15, v28 dst_sel:DWORD dst_unused:UNUSED_PAD src0_sel:WORD_0 src1_sel:DWORD
	v_sub_nc_u16 v0, v43, v0
	v_and_b32_e32 v27, 0xff, v0
	v_mad_u64_u32 v[8:9], null, v27, 36, s[4:5]
	v_add_nc_u32_e32 v15, v15, v27
	s_clause 0x2
	global_load_dwordx4 v[4:7], v[8:9], off
	global_load_dwordx4 v[0:3], v[8:9], off offset:16
	global_load_dword v50, v[8:9], off offset:32
	v_add_nc_u32_e32 v8, 0x200, v38
	ds_read2_b32 v[9:10], v38 offset1:108
	v_lshl_add_u32 v49, v15, 2, v46
	ds_read2_b32 v[11:12], v8 offset0:88 offset1:196
	v_add_nc_u32_e32 v8, 0xc00, v38
	ds_read2_b32 v[13:14], v13 offset0:48 offset1:156
	ds_read2_b32 v[23:24], v23 offset0:136 offset1:244
	;; [unrolled: 1-line block ×3, first 2 shown]
	s_waitcnt vmcnt(0) lgkmcnt(0)
	s_barrier
	buffer_gl0_inv
	v_lshrrev_b32_e32 v28, 16, v10
	v_lshrrev_b32_e32 v31, 16, v9
	;; [unrolled: 1-line block ×10, first 2 shown]
	v_mul_f16_sdwa v15, v28, v4 dst_sel:DWORD dst_unused:UNUSED_PAD src0_sel:DWORD src1_sel:WORD_1
	v_mul_f16_sdwa v55, v10, v4 dst_sel:DWORD dst_unused:UNUSED_PAD src0_sel:DWORD src1_sel:WORD_1
	;; [unrolled: 1-line block ×18, first 2 shown]
	v_fma_f16 v10, v10, v4, -v15
	v_fmac_f16_e32 v55, v28, v4
	v_fma_f16 v11, v11, v5, -v58
	v_fmac_f16_e32 v59, v32, v5
	;; [unrolled: 2-line block ×9, first 2 shown]
	v_add_f16_e32 v26, v9, v11
	v_add_f16_e32 v27, v13, v15
	v_sub_f16_e32 v35, v11, v13
	v_sub_f16_e32 v36, v24, v15
	v_add_f16_e32 v47, v11, v24
	v_add_f16_e32 v54, v31, v59
	v_sub_f16_e32 v62, v59, v63
	v_sub_f16_e32 v64, v71, v67
	v_add_f16_e32 v70, v10, v12
	v_add_f16_e32 v72, v14, v23
	v_add_f16_e32 v81, v55, v61
	v_add_f16_e32 v82, v65, v69
	v_add_f16_e32 v78, v12, v25
	v_add_f16_e32 v86, v61, v73
	v_sub_f16_e32 v28, v59, v71
	v_sub_f16_e32 v32, v63, v67
	v_sub_f16_e32 v48, v13, v11
	v_sub_f16_e32 v53, v15, v24
	v_add_f16_e32 v58, v63, v67
	v_sub_f16_e32 v60, v13, v15
	v_add_f16_e32 v66, v59, v71
	v_sub_f16_e32 v59, v63, v59
	v_sub_f16_e32 v74, v61, v73
	;; [unrolled: 1-line block ×6, first 2 shown]
	v_add_f16_e32 v13, v26, v13
	v_add_f16_e32 v26, v35, v36
	v_fma_f16 v35, -0.5, v27, v9
	v_fmac_f16_e32 v9, -0.5, v47
	v_add_f16_e32 v36, v54, v63
	v_add_f16_e32 v47, v62, v64
	;; [unrolled: 1-line block ×3, first 2 shown]
	v_fma_f16 v54, -0.5, v72, v10
	v_add_f16_e32 v62, v81, v65
	v_fma_f16 v63, -0.5, v82, v55
	v_sub_f16_e32 v68, v67, v71
	v_sub_f16_e32 v75, v65, v69
	v_fmac_f16_e32 v10, -0.5, v78
	v_fmac_f16_e32 v55, -0.5, v86
	v_sub_f16_e32 v77, v25, v23
	v_sub_f16_e32 v80, v23, v25
	;; [unrolled: 1-line block ×5, first 2 shown]
	v_add_f16_e32 v27, v48, v53
	v_fma_f16 v48, -0.5, v58, v31
	v_fmac_f16_e32 v31, -0.5, v66
	v_add_f16_e32 v14, v14, v23
	v_fmamk_f16 v23, v74, 0x3b9c, v54
	v_add_f16_e32 v62, v62, v69
	v_fmamk_f16 v69, v12, 0xbb9c, v63
	v_sub_f16_e32 v61, v65, v61
	v_add_f16_e32 v53, v59, v68
	v_fmamk_f16 v68, v75, 0xbb9c, v10
	v_fmac_f16_e32 v10, 0x3b9c, v75
	v_fmamk_f16 v70, v83, 0x3b9c, v55
	v_fmac_f16_e32 v55, 0xbb9c, v83
	v_sub_f16_e32 v11, v11, v24
	v_fmac_f16_e32 v54, 0xbb9c, v74
	v_fmac_f16_e32 v63, 0x3b9c, v12
	v_add_f16_e32 v58, v76, v77
	v_add_f16_e32 v64, v84, v85
	;; [unrolled: 1-line block ×4, first 2 shown]
	v_fmamk_f16 v67, v60, 0x3b9c, v31
	v_fmac_f16_e32 v31, 0xbb9c, v60
	v_fmac_f16_e32 v23, 0x38b4, v75
	v_fmac_f16_e32 v69, 0xb8b4, v83
	v_add_f16_e32 v59, v79, v80
	v_add_f16_e32 v61, v61, v87
	v_fmamk_f16 v15, v28, 0x3b9c, v35
	v_fmac_f16_e32 v35, 0xbb9c, v28
	v_fmac_f16_e32 v68, 0x38b4, v74
	;; [unrolled: 1-line block ×5, first 2 shown]
	v_fmamk_f16 v65, v32, 0xbb9c, v9
	v_fmac_f16_e32 v9, 0x3b9c, v32
	v_fmamk_f16 v66, v11, 0xbb9c, v48
	v_fmac_f16_e32 v48, 0x3b9c, v11
	v_fmac_f16_e32 v54, 0xb8b4, v75
	;; [unrolled: 1-line block ×3, first 2 shown]
	v_add_f16_e32 v13, v13, v24
	v_add_f16_e32 v24, v36, v71
	v_fmac_f16_e32 v67, 0xb8b4, v11
	v_fmac_f16_e32 v31, 0x38b4, v11
	v_add_f16_e32 v11, v14, v25
	v_add_f16_e32 v14, v62, v73
	v_fmac_f16_e32 v23, 0x34f2, v58
	v_fmac_f16_e32 v69, 0x34f2, v64
	v_fmac_f16_e32 v15, 0x38b4, v32
	v_fmac_f16_e32 v35, 0xb8b4, v32
	v_fmac_f16_e32 v68, 0x34f2, v59
	v_fmac_f16_e32 v10, 0x34f2, v59
	v_fmac_f16_e32 v70, 0x34f2, v61
	v_fmac_f16_e32 v55, 0x34f2, v61
	v_fmac_f16_e32 v65, 0x38b4, v28
	v_fmac_f16_e32 v9, 0xb8b4, v28
	v_fmac_f16_e32 v66, 0xb8b4, v60
	v_fmac_f16_e32 v48, 0x38b4, v60
	v_fmac_f16_e32 v54, 0x34f2, v58
	v_fmac_f16_e32 v63, 0x34f2, v64
	v_add_f16_e32 v12, v13, v11
	v_add_f16_e32 v25, v24, v14
	v_sub_f16_e32 v11, v13, v11
	v_sub_f16_e32 v13, v24, v14
	v_mul_f16_e32 v14, 0x38b4, v69
	v_mul_f16_e32 v32, 0xb8b4, v23
	v_fmac_f16_e32 v15, 0x34f2, v26
	v_fmac_f16_e32 v35, 0x34f2, v26
	v_mul_f16_e32 v24, 0x3b9c, v70
	v_mul_f16_e32 v26, 0x34f2, v10
	;; [unrolled: 1-line block ×4, first 2 shown]
	v_fmac_f16_e32 v65, 0x34f2, v27
	v_fmac_f16_e32 v9, 0x34f2, v27
	v_fmac_f16_e32 v66, 0x34f2, v47
	v_fmac_f16_e32 v48, 0x34f2, v47
	v_mul_f16_e32 v27, 0x3a79, v54
	v_mul_f16_e32 v47, 0x3a79, v63
	v_fmac_f16_e32 v14, 0x3a79, v23
	v_fmac_f16_e32 v32, 0x3a79, v69
	;; [unrolled: 1-line block ×4, first 2 shown]
	v_pack_b32_f16 v11, v11, v13
	v_fmac_f16_e32 v24, 0x34f2, v68
	v_fma_f16 v13, v55, 0x3b9c, -v26
	v_fmac_f16_e32 v36, 0x34f2, v70
	v_fma_f16 v10, v10, 0xbb9c, -v28
	v_pack_b32_f16 v12, v12, v25
	v_fma_f16 v25, v63, 0x38b4, -v27
	v_fma_f16 v26, v54, 0xb8b4, -v47
	v_add_f16_e32 v47, v15, v14
	v_add_f16_e32 v60, v66, v32
	;; [unrolled: 1-line block ×8, first 2 shown]
	v_sub_f16_e32 v23, v15, v14
	v_sub_f16_e32 v24, v65, v24
	;; [unrolled: 1-line block ×8, first 2 shown]
	v_pack_b32_f16 v9, v47, v60
	v_pack_b32_f16 v10, v53, v61
	;; [unrolled: 1-line block ×8, first 2 shown]
	ds_write2_b32 v49, v12, v9 offset1:6
	ds_write2_b32 v49, v10, v13 offset0:12 offset1:18
	ds_write2_b32 v49, v14, v11 offset0:24 offset1:30
	;; [unrolled: 1-line block ×4, first 2 shown]
	s_waitcnt lgkmcnt(0)
	s_barrier
	buffer_gl0_inv
	ds_read2_b32 v[25:26], v38 offset1:180
	ds_read2_b32 v[31:32], v29 offset0:40 offset1:220
	ds_read2_b32 v[29:30], v30 offset0:16 offset1:196
	s_and_saveexec_b32 s0, vcc_lo
	s_cbranch_execz .LBB0_9
; %bb.8:
	v_add_nc_u32_e32 v9, 0x100, v38
	v_add_nc_u32_e32 v10, 0x700, v38
	ds_read2_b32 v[21:22], v8 offset0:60 offset1:240
	ds_read2_b32 v[23:24], v9 offset0:44 offset1:224
	;; [unrolled: 1-line block ×3, first 2 shown]
	s_waitcnt lgkmcnt(2)
	v_lshrrev_b32_e32 v33, 16, v21
	s_waitcnt lgkmcnt(1)
	v_lshrrev_b32_e32 v35, 16, v23
	v_lshrrev_b32_e32 v36, 16, v24
	s_waitcnt lgkmcnt(0)
	v_lshrrev_b32_e32 v58, 16, v27
	v_lshrrev_b32_e32 v59, 16, v28
	;; [unrolled: 1-line block ×3, first 2 shown]
.LBB0_9:
	s_or_b32 exec_lo, exec_lo, s0
	v_subrev_nc_u32_e32 v8, 60, v43
	v_cmp_gt_u16_e64 s0, 60, v43
	v_and_b32_e32 v14, 0xff, v57
	s_waitcnt lgkmcnt(2)
	v_lshrrev_b32_e32 v61, 16, v26
	s_waitcnt lgkmcnt(1)
	v_lshrrev_b32_e32 v62, 16, v31
	v_lshrrev_b32_e32 v63, 16, v32
	v_cndmask_b32_e64 v60, v8, v43, s0
	v_mul_lo_u16 v14, 0x89, v14
	s_waitcnt lgkmcnt(0)
	v_lshrrev_b32_e32 v64, 16, v29
	v_lshrrev_b32_e32 v65, 16, v30
	v_mul_i32_i24_e32 v8, 20, v60
	v_mul_hi_i32_i24_e32 v9, 20, v60
	v_lshrrev_b16 v48, 13, v14
	v_add_co_u32 v12, s0, s4, v8
	v_add_co_ci_u32_e64 v13, s0, s5, v9, s0
	v_cmp_lt_u16_e64 s0, 59, v43
	s_clause 0x1
	global_load_dwordx4 v[8:11], v[12:13], off offset:216
	global_load_dword v55, v[12:13], off offset:232
	v_mul_lo_u16 v12, v48, 60
	v_sub_nc_u16 v12, v57, v12
	v_and_b32_e32 v47, 0xff, v12
	v_mad_u64_u32 v[53:54], null, v47, 20, s[4:5]
	s_clause 0x1
	global_load_dwordx4 v[12:15], v[53:54], off offset:216
	global_load_dword v54, v[53:54], off offset:232
	v_cndmask_b32_e64 v53, 0, 0x168, s0
	s_waitcnt vmcnt(0)
	s_barrier
	buffer_gl0_inv
	v_add_nc_u32_e32 v53, v60, v53
	v_lshrrev_b32_e32 v60, 16, v25
	v_lshl_add_u32 v53, v53, 2, v46
	v_add_nc_u32_e32 v66, 0x200, v53
	v_mul_f16_sdwa v67, v61, v8 dst_sel:DWORD dst_unused:UNUSED_PAD src0_sel:DWORD src1_sel:WORD_1
	v_mul_f16_sdwa v68, v26, v8 dst_sel:DWORD dst_unused:UNUSED_PAD src0_sel:DWORD src1_sel:WORD_1
	;; [unrolled: 1-line block ×10, first 2 shown]
	v_fma_f16 v26, v26, v8, -v67
	v_fmac_f16_e32 v68, v61, v8
	v_fma_f16 v31, v31, v9, -v69
	v_fmac_f16_e32 v70, v62, v9
	;; [unrolled: 2-line block ×5, first 2 shown]
	v_add_f16_e32 v61, v25, v31
	v_add_f16_e32 v62, v31, v29
	v_sub_f16_e32 v63, v70, v74
	v_add_f16_e32 v64, v60, v70
	v_add_f16_e32 v65, v70, v74
	v_add_f16_e32 v67, v26, v32
	v_add_f16_e32 v69, v32, v30
	v_sub_f16_e32 v70, v72, v76
	v_add_f16_e32 v71, v68, v72
	v_add_f16_e32 v72, v72, v76
	v_sub_f16_e32 v31, v31, v29
	v_sub_f16_e32 v32, v32, v30
	v_add_f16_e32 v29, v61, v29
	v_fmac_f16_e32 v25, -0.5, v62
	v_add_f16_e32 v61, v64, v74
	v_fmac_f16_e32 v60, -0.5, v65
	;; [unrolled: 2-line block ×4, first 2 shown]
	v_mul_f16_sdwa v64, v36, v12 dst_sel:DWORD dst_unused:UNUSED_PAD src0_sel:DWORD src1_sel:WORD_1
	v_mul_f16_sdwa v65, v24, v12 dst_sel:DWORD dst_unused:UNUSED_PAD src0_sel:DWORD src1_sel:WORD_1
	;; [unrolled: 1-line block ×10, first 2 shown]
	v_fmamk_f16 v77, v63, 0x3aee, v25
	v_fmac_f16_e32 v25, 0xbaee, v63
	v_fmamk_f16 v63, v31, 0xbaee, v60
	v_fmac_f16_e32 v60, 0x3aee, v31
	v_fmamk_f16 v31, v70, 0x3aee, v26
	v_fmac_f16_e32 v26, 0xbaee, v70
	v_fmamk_f16 v70, v32, 0xbaee, v68
	v_fmac_f16_e32 v68, 0x3aee, v32
	v_add_f16_e32 v32, v29, v30
	v_add_f16_e32 v78, v61, v62
	v_sub_f16_e32 v29, v29, v30
	v_sub_f16_e32 v30, v61, v62
	v_fma_f16 v61, v24, v12, -v64
	v_fmac_f16_e32 v65, v36, v12
	v_fma_f16 v24, v27, v13, -v67
	v_fmac_f16_e32 v69, v58, v13
	;; [unrolled: 2-line block ×3, first 2 shown]
	v_fmac_f16_e32 v74, v33, v15
	v_fma_f16 v28, v22, v54, -v75
	v_fmac_f16_e32 v76, v34, v54
	v_fma_f16 v21, v21, v15, -v73
	v_mul_f16_e32 v33, 0x3aee, v70
	v_mul_f16_e32 v34, -0.5, v26
	v_mul_f16_e32 v36, 0xbaee, v31
	v_mul_f16_e32 v58, -0.5, v68
	v_pack_b32_f16 v62, v29, v30
	v_sub_f16_e32 v30, v69, v74
	v_add_f16_e32 v59, v35, v69
	v_add_f16_e32 v64, v69, v74
	v_add_f16_e32 v69, v27, v28
	v_sub_f16_e32 v71, v72, v76
	v_add_f16_e32 v73, v65, v72
	v_add_f16_e32 v72, v72, v76
	;; [unrolled: 1-line block ×4, first 2 shown]
	v_sub_f16_e32 v67, v24, v21
	v_add_f16_e32 v24, v61, v27
	v_sub_f16_e32 v75, v27, v28
	v_fmac_f16_e32 v33, 0.5, v31
	v_fmac_f16_e32 v34, 0x3aee, v68
	v_fmac_f16_e32 v36, 0.5, v70
	v_fmac_f16_e32 v58, 0xbaee, v26
	v_fmac_f16_e32 v35, -0.5, v64
	v_fmac_f16_e32 v61, -0.5, v69
	;; [unrolled: 1-line block ×4, first 2 shown]
	v_add_f16_e32 v24, v24, v28
	v_add_f16_e32 v28, v77, v33
	;; [unrolled: 1-line block ×5, first 2 shown]
	v_sub_f16_e32 v36, v63, v36
	v_fmamk_f16 v27, v67, 0xbaee, v35
	v_fmac_f16_e32 v35, 0x3aee, v67
	v_fmamk_f16 v63, v71, 0x3aee, v61
	v_fmac_f16_e32 v61, 0xbaee, v71
	;; [unrolled: 2-line block ×3, first 2 shown]
	v_sub_f16_e32 v34, v25, v34
	v_fmamk_f16 v25, v30, 0x3aee, v23
	v_fmac_f16_e32 v23, 0xbaee, v30
	v_pack_b32_f16 v68, v28, v31
	v_pack_b32_f16 v69, v29, v64
	v_mul_f16_e32 v28, 0x3aee, v67
	v_mul_f16_e32 v29, -0.5, v61
	v_mul_f16_e32 v30, 0xbaee, v63
	v_mul_f16_e32 v31, -0.5, v65
	v_add_f16_e32 v21, v22, v21
	v_add_f16_e32 v22, v59, v74
	;; [unrolled: 1-line block ×3, first 2 shown]
	v_fmac_f16_e32 v28, 0.5, v63
	v_fmac_f16_e32 v29, 0x3aee, v65
	v_fmac_f16_e32 v30, 0.5, v67
	v_fmac_f16_e32 v31, 0xbaee, v61
	v_sub_f16_e32 v33, v77, v33
	v_sub_f16_e32 v60, v60, v58
	v_pack_b32_f16 v32, v32, v78
	v_sub_f16_e32 v58, v21, v24
	v_sub_f16_e32 v59, v22, v26
	;; [unrolled: 1-line block ×6, first 2 shown]
	v_pack_b32_f16 v33, v33, v36
	v_pack_b32_f16 v34, v34, v60
	ds_write2_b32 v53, v32, v68 offset1:60
	ds_write2_b32 v53, v69, v62 offset0:120 offset1:180
	ds_write2_b32 v66, v33, v34 offset0:112 offset1:172
	s_and_saveexec_b32 s0, vcc_lo
	s_cbranch_execz .LBB0_11
; %bb.10:
	v_mov_b32_e32 v32, 0x168
	v_add_f16_e32 v22, v22, v26
	v_add_f16_e32 v21, v21, v24
	;; [unrolled: 1-line block ×4, first 2 shown]
	v_mul_u32_u24_sdwa v32, v48, v32 dst_sel:DWORD dst_unused:UNUSED_PAD src0_sel:WORD_0 src1_sel:DWORD
	v_add_f16_e32 v31, v35, v31
	v_add_f16_e32 v23, v23, v29
	v_pack_b32_f16 v21, v21, v22
	v_perm_b32 v26, v64, v61, 0x5040100
	v_add_nc_u32_e32 v24, v32, v47
	v_pack_b32_f16 v23, v23, v31
	v_lshl_add_u32 v22, v24, 2, v46
	v_pack_b32_f16 v24, v25, v27
	v_perm_b32 v25, v59, v58, 0x5040100
	v_perm_b32 v27, v65, v63, 0x5040100
	v_add_nc_u32_e32 v28, 0x200, v22
	ds_write2_b32 v22, v21, v24 offset1:60
	ds_write2_b32 v22, v23, v25 offset0:120 offset1:180
	ds_write2_b32 v28, v26, v27 offset0:112 offset1:172
.LBB0_11:
	s_or_b32 exec_lo, exec_lo, s0
	v_add_nc_u32_e32 v21, 0x200, v38
	v_add_nc_u32_e32 v22, 0xa00, v38
	;; [unrolled: 1-line block ×3, first 2 shown]
	s_waitcnt lgkmcnt(0)
	s_barrier
	buffer_gl0_inv
	ds_read2_b32 v[31:32], v38 offset1:108
	ds_read2_b32 v[29:30], v21 offset0:88 offset1:232
	ds_read2_b32 v[35:36], v22 offset0:80 offset1:188
	ds_read2_b32 v[33:34], v23 offset0:84 offset1:192
	ds_read_b32 v60, v38 offset:3744
	v_cmp_gt_u16_e64 s0, 36, v43
	s_and_saveexec_b32 s1, s0
	s_cbranch_execz .LBB0_13
; %bb.12:
	ds_read_b32 v58, v38 offset:1296
	ds_read_b32 v61, v38 offset:2736
	;; [unrolled: 1-line block ×3, first 2 shown]
	s_waitcnt lgkmcnt(2)
	v_lshrrev_b32_e32 v59, 16, v58
	s_waitcnt lgkmcnt(1)
	v_lshrrev_b32_e32 v64, 16, v61
	;; [unrolled: 2-line block ×3, first 2 shown]
.LBB0_13:
	s_or_b32 exec_lo, exec_lo, s1
	v_lshlrev_b32_e32 v21, 3, v43
	v_lshlrev_b32_e32 v22, 3, v57
	s_waitcnt lgkmcnt(2)
	v_lshrrev_b32_e32 v67, 16, v35
	s_waitcnt lgkmcnt(1)
	v_lshrrev_b32_e32 v69, 16, v33
	v_lshrrev_b32_e32 v70, 16, v36
	s_clause 0x1
	global_load_dwordx2 v[27:28], v21, s[4:5] offset:1416
	global_load_dwordx2 v[25:26], v22, s[4:5] offset:1416
	v_add_nc_u32_e32 v21, 0x6c0, v21
	v_add_co_u32 v22, s6, 0xffffffdc, v43
	v_add_co_ci_u32_e64 v62, null, 0, -1, s6
	global_load_dwordx2 v[23:24], v21, s[4:5] offset:1416
	v_add_co_u32 v21, s1, 0x144, v43
	v_add_co_ci_u32_e64 v57, null, 0, 0, s1
	v_lshrrev_b32_e32 v71, 16, v34
	v_cndmask_b32_e64 v21, v22, v21, s0
	s_waitcnt lgkmcnt(0)
	v_lshrrev_b32_e32 v72, 16, v60
	v_cndmask_b32_e64 v22, v62, v57, s0
	v_lshrrev_b32_e32 v62, 16, v30
	v_lshl_add_u32 v56, v56, 2, v37
	v_lshrrev_b32_e32 v66, 16, v31
	v_lshrrev_b32_e32 v68, 16, v32
	v_lshlrev_b64 v[21:22], 3, v[21:22]
	v_lshrrev_b32_e32 v57, 16, v29
	v_add_co_u32 v21, s1, s4, v21
	v_add_co_ci_u32_e64 v22, s1, s5, v22, s1
	global_load_dwordx2 v[21:22], v[21:22], off offset:1416
	s_waitcnt vmcnt(3)
	v_mul_f16_sdwa v37, v62, v27 dst_sel:DWORD dst_unused:UNUSED_PAD src0_sel:DWORD src1_sel:WORD_1
	v_mul_f16_sdwa v73, v30, v27 dst_sel:DWORD dst_unused:UNUSED_PAD src0_sel:DWORD src1_sel:WORD_1
	;; [unrolled: 1-line block ×4, first 2 shown]
	s_waitcnt vmcnt(2)
	v_mul_f16_sdwa v76, v69, v25 dst_sel:DWORD dst_unused:UNUSED_PAD src0_sel:DWORD src1_sel:WORD_1
	v_mul_f16_sdwa v77, v33, v25 dst_sel:DWORD dst_unused:UNUSED_PAD src0_sel:DWORD src1_sel:WORD_1
	;; [unrolled: 1-line block ×4, first 2 shown]
	v_fma_f16 v30, v30, v27, -v37
	v_fmac_f16_e32 v73, v62, v27
	v_fma_f16 v35, v35, v28, -v74
	v_fmac_f16_e32 v75, v67, v28
	;; [unrolled: 2-line block ×3, first 2 shown]
	v_fma_f16 v36, v36, v26, -v78
	s_waitcnt vmcnt(1)
	v_mul_f16_sdwa v37, v71, v23 dst_sel:DWORD dst_unused:UNUSED_PAD src0_sel:DWORD src1_sel:WORD_1
	v_mul_f16_sdwa v62, v34, v23 dst_sel:DWORD dst_unused:UNUSED_PAD src0_sel:DWORD src1_sel:WORD_1
	;; [unrolled: 1-line block ×4, first 2 shown]
	v_fmac_f16_e32 v79, v70, v26
	v_fma_f16 v34, v34, v23, -v37
	v_fmac_f16_e32 v62, v71, v23
	v_fma_f16 v37, v60, v24, -v67
	v_fmac_f16_e32 v69, v72, v24
	v_add_f16_e32 v60, v31, v30
	v_add_f16_e32 v67, v30, v35
	v_sub_f16_e32 v70, v73, v75
	v_add_f16_e32 v71, v66, v73
	v_add_f16_e32 v72, v73, v75
	;; [unrolled: 1-line block ×4, first 2 shown]
	v_sub_f16_e32 v76, v77, v79
	v_add_f16_e32 v78, v68, v77
	v_add_f16_e32 v77, v77, v79
	v_sub_f16_e32 v30, v30, v35
	v_sub_f16_e32 v33, v33, v36
	v_add_f16_e32 v35, v60, v35
	v_fma_f16 v31, -0.5, v67, v31
	v_add_f16_e32 v67, v71, v75
	v_fmac_f16_e32 v66, -0.5, v72
	v_add_f16_e32 v36, v73, v36
	v_fmac_f16_e32 v32, -0.5, v74
	;; [unrolled: 2-line block ×3, first 2 shown]
	v_add_f16_e32 v60, v29, v34
	s_waitcnt vmcnt(0)
	v_mul_f16_sdwa v77, v64, v21 dst_sel:DWORD dst_unused:UNUSED_PAD src0_sel:DWORD src1_sel:WORD_1
	v_mul_f16_sdwa v78, v61, v21 dst_sel:DWORD dst_unused:UNUSED_PAD src0_sel:DWORD src1_sel:WORD_1
	;; [unrolled: 1-line block ×4, first 2 shown]
	v_add_f16_e32 v72, v34, v37
	v_add_f16_e32 v74, v57, v62
	v_sub_f16_e32 v34, v34, v37
	v_fmamk_f16 v81, v70, 0x3aee, v31
	v_fmac_f16_e32 v31, 0xbaee, v70
	v_fmamk_f16 v70, v30, 0xbaee, v66
	v_fmac_f16_e32 v66, 0x3aee, v30
	;; [unrolled: 2-line block ×4, first 2 shown]
	v_add_f16_e32 v60, v60, v37
	v_pack_b32_f16 v33, v35, v67
	v_pack_b32_f16 v35, v36, v71
	v_fma_f16 v36, v61, v21, -v77
	v_fmac_f16_e32 v78, v64, v21
	v_fma_f16 v37, v63, v22, -v79
	v_fmac_f16_e32 v80, v65, v22
	v_add_f16_e32 v75, v62, v69
	v_sub_f16_e32 v73, v62, v69
	v_add_f16_e32 v62, v74, v69
	v_add_f16_e32 v65, v36, v37
	;; [unrolled: 1-line block ×3, first 2 shown]
	v_fmac_f16_e32 v29, -0.5, v72
	v_fmac_f16_e32 v57, -0.5, v75
	v_pack_b32_f16 v31, v31, v66
	v_add_f16_e32 v64, v58, v36
	v_sub_f16_e32 v66, v78, v80
	v_add_f16_e32 v67, v59, v78
	v_sub_f16_e32 v36, v36, v37
	v_fmac_f16_e32 v58, -0.5, v65
	v_fmac_f16_e32 v59, -0.5, v69
	v_fmamk_f16 v61, v73, 0x3aee, v29
	v_fmamk_f16 v63, v34, 0xbaee, v57
	v_fmac_f16_e32 v57, 0x3aee, v34
	v_pack_b32_f16 v34, v81, v70
	v_fmac_f16_e32 v29, 0xbaee, v73
	v_pack_b32_f16 v30, v30, v76
	v_add_f16_e32 v64, v64, v37
	v_add_f16_e32 v67, v67, v80
	v_fmamk_f16 v65, v66, 0x3aee, v58
	v_fmac_f16_e32 v58, 0xbaee, v66
	v_fmamk_f16 v66, v36, 0xbaee, v59
	v_fmac_f16_e32 v59, 0x3aee, v36
	v_pack_b32_f16 v32, v32, v68
	v_pack_b32_f16 v68, v60, v62
	ds_write_b32 v38, v34 offset:1440
	ds_write_b32 v38, v31 offset:2880
	ds_write2_b32 v38, v33, v35 offset1:108
	v_pack_b32_f16 v31, v61, v63
	v_pack_b32_f16 v33, v29, v57
	ds_write_b32 v38, v30 offset:1872
	ds_write_b32 v38, v32 offset:3312
	;; [unrolled: 1-line block ×5, first 2 shown]
	s_and_saveexec_b32 s1, s0
	s_cbranch_execz .LBB0_15
; %bb.14:
	v_perm_b32 v30, v67, v64, 0x5040100
	v_perm_b32 v31, v66, v65, 0x5040100
	;; [unrolled: 1-line block ×3, first 2 shown]
	ds_write_b32 v38, v30 offset:1296
	ds_write_b32 v38, v31 offset:2736
	;; [unrolled: 1-line block ×3, first 2 shown]
.LBB0_15:
	s_or_b32 exec_lo, exec_lo, s1
	v_add_co_u32 v30, s1, 0x10e0, v18
	v_add_co_ci_u32_e64 v31, s1, 0, v19, s1
	v_add_co_u32 v32, s1, 0x1000, v18
	v_add_co_ci_u32_e64 v33, s1, 0, v19, s1
	;; [unrolled: 2-line block ×3, first 2 shown]
	s_waitcnt lgkmcnt(0)
	s_barrier
	buffer_gl0_inv
	s_clause 0x5
	global_load_dword v37, v[30:31], off offset:720
	global_load_dword v72, v[32:33], off offset:224
	;; [unrolled: 1-line block ×6, first 2 shown]
	v_add_nc_u32_e32 v34, 0x500, v38
	v_add_nc_u32_e32 v36, 0xb00, v38
	ds_read2_b32 v[32:33], v38 offset1:180
	ds_read2_b32 v[68:69], v34 offset0:40 offset1:220
	ds_read2_b32 v[70:71], v36 offset0:16 offset1:196
	s_waitcnt lgkmcnt(2)
	v_lshrrev_b32_e32 v76, 16, v32
	v_lshrrev_b32_e32 v77, 16, v33
	s_waitcnt lgkmcnt(1)
	v_lshrrev_b32_e32 v78, 16, v68
	v_lshrrev_b32_e32 v79, 16, v69
	;; [unrolled: 3-line block ×3, first 2 shown]
	s_waitcnt vmcnt(5)
	v_mul_f16_sdwa v84, v77, v37 dst_sel:DWORD dst_unused:UNUSED_PAD src0_sel:DWORD src1_sel:WORD_1
	s_waitcnt vmcnt(4)
	v_mul_f16_sdwa v82, v76, v72 dst_sel:DWORD dst_unused:UNUSED_PAD src0_sel:DWORD src1_sel:WORD_1
	v_mul_f16_sdwa v83, v32, v72 dst_sel:DWORD dst_unused:UNUSED_PAD src0_sel:DWORD src1_sel:WORD_1
	;; [unrolled: 1-line block ×3, first 2 shown]
	s_waitcnt vmcnt(3)
	v_mul_f16_sdwa v88, v79, v73 dst_sel:DWORD dst_unused:UNUSED_PAD src0_sel:DWORD src1_sel:WORD_1
	s_waitcnt vmcnt(0)
	v_mul_f16_sdwa v86, v78, v75 dst_sel:DWORD dst_unused:UNUSED_PAD src0_sel:DWORD src1_sel:WORD_1
	v_mul_f16_sdwa v87, v68, v75 dst_sel:DWORD dst_unused:UNUSED_PAD src0_sel:DWORD src1_sel:WORD_1
	;; [unrolled: 1-line block ×7, first 2 shown]
	v_fma_f16 v32, v32, v72, -v82
	v_fmac_f16_e32 v83, v76, v72
	v_fma_f16 v33, v33, v37, -v84
	v_fmac_f16_e32 v85, v77, v37
	;; [unrolled: 2-line block ×6, first 2 shown]
	v_pack_b32_f16 v32, v32, v83
	v_pack_b32_f16 v33, v33, v85
	;; [unrolled: 1-line block ×6, first 2 shown]
	ds_write2_b32 v38, v32, v33 offset1:180
	ds_write2_b32 v34, v35, v37 offset0:40 offset1:220
	ds_write2_b32 v36, v68, v69 offset0:16 offset1:196
	s_and_saveexec_b32 s4, vcc_lo
	s_cbranch_execz .LBB0_17
; %bb.16:
	s_clause 0x2
	global_load_dword v35, v[30:31], off offset:432
	global_load_dword v37, v[30:31], off offset:1152
	;; [unrolled: 1-line block ×3, first 2 shown]
	v_add_co_u32 v30, s1, 0x800, v30
	v_add_co_ci_u32_e64 v31, s1, 0, v31, s1
	v_add_nc_u32_e32 v74, 0x100, v38
	v_add_nc_u32_e32 v75, 0x700, v38
	s_clause 0x2
	global_load_dword v71, v[30:31], off offset:544
	global_load_dword v72, v[30:31], off offset:1264
	global_load_dword v73, v[30:31], off offset:1984
	v_add_nc_u32_e32 v76, 0xc00, v38
	ds_read2_b32 v[30:31], v74 offset0:44 offset1:224
	ds_read2_b32 v[32:33], v75 offset0:20 offset1:200
	;; [unrolled: 1-line block ×3, first 2 shown]
	s_waitcnt lgkmcnt(2)
	v_lshrrev_b32_e32 v77, 16, v30
	v_lshrrev_b32_e32 v78, 16, v31
	s_waitcnt lgkmcnt(1)
	v_lshrrev_b32_e32 v79, 16, v32
	v_lshrrev_b32_e32 v80, 16, v33
	;; [unrolled: 3-line block ×3, first 2 shown]
	s_waitcnt vmcnt(5)
	v_mul_f16_sdwa v83, v77, v35 dst_sel:DWORD dst_unused:UNUSED_PAD src0_sel:DWORD src1_sel:WORD_1
	v_mul_f16_sdwa v84, v30, v35 dst_sel:DWORD dst_unused:UNUSED_PAD src0_sel:DWORD src1_sel:WORD_1
	s_waitcnt vmcnt(4)
	v_mul_f16_sdwa v85, v78, v37 dst_sel:DWORD dst_unused:UNUSED_PAD src0_sel:DWORD src1_sel:WORD_1
	v_mul_f16_sdwa v86, v31, v37 dst_sel:DWORD dst_unused:UNUSED_PAD src0_sel:DWORD src1_sel:WORD_1
	;; [unrolled: 3-line block ×3, first 2 shown]
	v_fma_f16 v30, v30, v35, -v83
	v_fmac_f16_e32 v84, v77, v35
	v_fma_f16 v31, v31, v37, -v85
	v_fmac_f16_e32 v86, v78, v37
	s_waitcnt vmcnt(2)
	v_mul_f16_sdwa v35, v80, v71 dst_sel:DWORD dst_unused:UNUSED_PAD src0_sel:DWORD src1_sel:WORD_1
	v_mul_f16_sdwa v37, v33, v71 dst_sel:DWORD dst_unused:UNUSED_PAD src0_sel:DWORD src1_sel:WORD_1
	v_fma_f16 v32, v32, v70, -v87
	v_fmac_f16_e32 v88, v79, v70
	s_waitcnt vmcnt(1)
	v_mul_f16_sdwa v70, v81, v72 dst_sel:DWORD dst_unused:UNUSED_PAD src0_sel:DWORD src1_sel:WORD_1
	v_mul_f16_sdwa v77, v68, v72 dst_sel:DWORD dst_unused:UNUSED_PAD src0_sel:DWORD src1_sel:WORD_1
	s_waitcnt vmcnt(0)
	v_mul_f16_sdwa v78, v82, v73 dst_sel:DWORD dst_unused:UNUSED_PAD src0_sel:DWORD src1_sel:WORD_1
	v_mul_f16_sdwa v79, v69, v73 dst_sel:DWORD dst_unused:UNUSED_PAD src0_sel:DWORD src1_sel:WORD_1
	v_fma_f16 v33, v33, v71, -v35
	v_fmac_f16_e32 v37, v80, v71
	v_fma_f16 v35, v68, v72, -v70
	v_fmac_f16_e32 v77, v81, v72
	;; [unrolled: 2-line block ×3, first 2 shown]
	v_pack_b32_f16 v30, v30, v84
	v_pack_b32_f16 v31, v31, v86
	;; [unrolled: 1-line block ×6, first 2 shown]
	ds_write2_b32 v74, v30, v31 offset0:44 offset1:224
	ds_write2_b32 v75, v32, v33 offset0:20 offset1:200
	;; [unrolled: 1-line block ×3, first 2 shown]
.LBB0_17:
	s_or_b32 exec_lo, exec_lo, s4
	s_waitcnt lgkmcnt(0)
	s_barrier
	buffer_gl0_inv
	ds_read2_b32 v[32:33], v38 offset1:180
	ds_read2_b32 v[34:35], v34 offset0:40 offset1:220
	ds_read2_b32 v[36:37], v36 offset0:16 offset1:196
	s_and_saveexec_b32 s1, vcc_lo
	s_cbranch_execz .LBB0_19
; %bb.18:
	v_lshl_add_u32 v30, v43, 2, v46
	ds_read_b32 v60, v38 offset:432
	ds_read_b32 v29, v38 offset:1872
	;; [unrolled: 1-line block ×6, first 2 shown]
	s_waitcnt lgkmcnt(5)
	v_lshrrev_b32_e32 v62, 16, v60
	s_waitcnt lgkmcnt(4)
	v_lshrrev_b32_e32 v57, 16, v29
	;; [unrolled: 2-line block ×6, first 2 shown]
.LBB0_19:
	s_or_b32 exec_lo, exec_lo, s1
	v_add_f16_e32 v30, v29, v65
	v_add_f16_e32 v71, v67, v59
	v_sub_f16_e32 v31, v57, v66
	v_add_f16_e32 v69, v57, v66
	s_waitcnt lgkmcnt(1)
	v_pk_add_f16 v77, v33, v35
	v_fma_f16 v68, -0.5, v30, v60
	v_add_f16_e32 v30, v64, v58
	v_fma_f16 v75, -0.5, v71, v63
	v_sub_f16_e32 v71, v64, v58
	v_fma_f16 v70, -0.5, v69, v62
	v_fmamk_f16 v69, v31, 0xbaee, v68
	v_fmac_f16_e32 v68, 0x3aee, v31
	v_fma_f16 v30, -0.5, v30, v61
	v_sub_f16_e32 v31, v67, v59
	v_fmamk_f16 v74, v71, 0x3aee, v75
	v_fmac_f16_e32 v75, 0xbaee, v71
	v_pk_add_f16 v76, v32, v34
	s_waitcnt lgkmcnt(0)
	v_pk_add_f16 v80, v34, v36
	v_fmamk_f16 v78, v31, 0xbaee, v30
	v_mul_f16_e32 v71, 0xbaee, v74
	v_fmac_f16_e32 v30, 0x3aee, v31
	v_mul_f16_e32 v74, 0.5, v74
	v_pk_add_f16 v31, v35, v37
	v_sub_f16_e32 v73, v29, v65
	v_fmac_f16_e32 v71, 0.5, v78
	v_pk_add_f16 v76, v76, v36
	v_fmac_f16_e32 v74, 0x3aee, v78
	v_pk_fma_f16 v33, v31, 0.5, v33 op_sel_hi:[1,0,1] neg_lo:[1,0,0] neg_hi:[1,0,0]
	v_pk_add_f16 v78, v35, v37 neg_lo:[0,1] neg_hi:[0,1]
	v_pk_add_f16 v37, v77, v37
	v_pk_fma_f16 v32, v80, 0.5, v32 op_sel_hi:[1,0,1] neg_lo:[1,0,0] neg_hi:[1,0,0]
	v_pk_add_f16 v34, v34, v36 neg_lo:[0,1] neg_hi:[0,1]
	v_fmamk_f16 v72, v73, 0x3aee, v70
	v_pk_fma_f16 v79, 0x3aee, v78, v33 op_sel:[0,0,1] op_sel_hi:[0,1,0] neg_lo:[0,1,0] neg_hi:[0,1,0]
	v_pk_fma_f16 v33, 0x3aee, v78, v33 op_sel:[0,0,1] op_sel_hi:[0,1,0]
	v_fmac_f16_e32 v70, 0xbaee, v73
	v_mul_f16_e32 v73, 0xbaee, v75
	v_mul_f16_e32 v75, -0.5, v75
	v_pk_mul_f16 v77, 0x3aee, v79 op_sel_hi:[0,1]
	v_lshrrev_b32_e32 v36, 16, v79
	v_mul_f16_e32 v78, 0xbaee, v33
	v_mul_f16_e32 v79, -0.5, v79
	v_pk_fma_f16 v81, 0x3aee, v34, v32 op_sel:[0,0,1] op_sel_hi:[0,1,0] neg_lo:[0,1,0] neg_hi:[0,1,0]
	v_pk_fma_f16 v80, 0xb8003800, v33, v77 op_sel:[0,0,1] op_sel_hi:[1,1,0]
	v_pk_fma_f16 v77, 0xb8003800, v33, v77 op_sel:[0,0,1] op_sel_hi:[1,1,0] neg_lo:[0,0,1] neg_hi:[0,0,1]
	v_lshrrev_b32_e32 v33, 16, v33
	v_pk_fma_f16 v82, 0x3aee, v34, v32 op_sel:[0,0,1] op_sel_hi:[0,1,0]
	v_fmac_f16_e32 v78, 0.5, v36
	v_fmac_f16_e32 v73, -0.5, v30
	v_bfi_b32 v36, 0xffff, v80, v77
	v_fmac_f16_e32 v79, 0x3aee, v33
	v_fmac_f16_e32 v75, 0x3aee, v30
	v_add_f16_sdwa v33, v81, v78 dst_sel:DWORD dst_unused:UNUSED_PAD src0_sel:WORD_1 src1_sel:DWORD
	v_alignbit_b32 v84, v82, v81, 16
	v_pk_add_f16 v83, v82, v36
	v_add_f16_e32 v36, v81, v79
	v_pack_b32_f16 v78, v78, v80
	v_alignbit_b32 v80, v81, v82, 16
	v_alignbit_b32 v77, v79, v77, 16
	v_sub_f16_e32 v30, v69, v71
	v_sub_f16_e32 v31, v68, v73
	;; [unrolled: 1-line block ×4, first 2 shown]
	v_pk_add_f16 v32, v76, v37
	v_pk_add_f16 v37, v76, v37 neg_lo:[0,1] neg_hi:[0,1]
	v_alignbit_b32 v36, v36, v83, 16
	v_pack_b32_f16 v33, v33, v83
	v_pk_add_f16 v76, v84, v78 neg_lo:[0,1] neg_hi:[0,1]
	v_pk_add_f16 v77, v80, v77 neg_lo:[0,1] neg_hi:[0,1]
	s_barrier
	buffer_gl0_inv
	ds_write2_b64 v52, v[32:33], v[36:37] offset1:1
	ds_write_b64 v52, v[76:77] offset:16
	s_and_saveexec_b32 s1, vcc_lo
	s_cbranch_execz .LBB0_21
; %bb.20:
	v_add_f16_e32 v32, v62, v57
	v_add_f16_e32 v33, v63, v67
	;; [unrolled: 1-line block ×11, first 2 shown]
	v_sub_f16_e32 v52, v32, v33
	v_add_f16_e32 v32, v32, v33
	v_sub_f16_e32 v57, v29, v36
	v_add_f16_e32 v29, v29, v36
	v_add_f16_e32 v60, v69, v71
	v_lshl_add_u32 v61, v51, 2, v46
	v_perm_b32 v51, v35, v30, 0x5040100
	v_pack_b32_f16 v33, v57, v52
	v_pack_b32_f16 v36, v29, v32
	;; [unrolled: 1-line block ×4, first 2 shown]
	v_perm_b32 v52, v34, v31, 0x5040100
	ds_write2_b64 v61, v[36:37], v[32:33] offset1:1
	ds_write_b64 v61, v[51:52] offset:16
.LBB0_21:
	s_or_b32 exec_lo, exec_lo, s1
	v_add_nc_u32_e32 v29, 0x200, v38
	s_waitcnt lgkmcnt(0)
	s_barrier
	buffer_gl0_inv
	ds_read2_b32 v[32:33], v38 offset1:108
	v_add_nc_u32_e32 v51, 0x600, v38
	v_add_nc_u32_e32 v57, 0x800, v38
	ds_read2_b32 v[36:37], v29 offset0:88 offset1:196
	v_add_nc_u32_e32 v29, 0xc00, v38
	ds_read2_b32 v[51:52], v51 offset0:48 offset1:156
	ds_read2_b32 v[57:58], v57 offset0:136 offset1:244
	;; [unrolled: 1-line block ×3, first 2 shown]
	s_waitcnt lgkmcnt(0)
	s_barrier
	buffer_gl0_inv
	v_lshrrev_b32_e32 v62, 16, v33
	v_mul_f16_sdwa v63, v4, v33 dst_sel:DWORD dst_unused:UNUSED_PAD src0_sel:WORD_1 src1_sel:DWORD
	v_lshrrev_b32_e32 v61, 16, v32
	v_lshrrev_b32_e32 v64, 16, v36
	;; [unrolled: 1-line block ×4, first 2 shown]
	v_mul_f16_sdwa v72, v4, v62 dst_sel:DWORD dst_unused:UNUSED_PAD src0_sel:WORD_1 src1_sel:DWORD
	v_fma_f16 v62, v4, v62, -v63
	v_mul_f16_sdwa v63, v5, v36 dst_sel:DWORD dst_unused:UNUSED_PAD src0_sel:WORD_1 src1_sel:DWORD
	v_lshrrev_b32_e32 v67, 16, v52
	v_lshrrev_b32_e32 v68, 16, v57
	v_mul_f16_sdwa v73, v6, v37 dst_sel:DWORD dst_unused:UNUSED_PAD src0_sel:WORD_1 src1_sel:DWORD
	v_mul_f16_sdwa v74, v7, v51 dst_sel:DWORD dst_unused:UNUSED_PAD src0_sel:WORD_1 src1_sel:DWORD
	v_fmac_f16_e32 v72, v4, v33
	v_mul_f16_sdwa v4, v5, v64 dst_sel:DWORD dst_unused:UNUSED_PAD src0_sel:WORD_1 src1_sel:DWORD
	v_mul_f16_sdwa v33, v6, v65 dst_sel:DWORD dst_unused:UNUSED_PAD src0_sel:WORD_1 src1_sel:DWORD
	v_fma_f16 v63, v5, v64, -v63
	v_mul_f16_sdwa v64, v7, v66 dst_sel:DWORD dst_unused:UNUSED_PAD src0_sel:WORD_1 src1_sel:DWORD
	v_lshrrev_b32_e32 v70, 16, v59
	v_fma_f16 v65, v6, v65, -v73
	v_fmac_f16_e32 v4, v5, v36
	v_fmac_f16_e32 v33, v6, v37
	v_mul_f16_sdwa v5, v0, v67 dst_sel:DWORD dst_unused:UNUSED_PAD src0_sel:WORD_1 src1_sel:DWORD
	v_fmac_f16_e32 v64, v7, v51
	v_fma_f16 v6, v7, v66, -v74
	v_mul_f16_sdwa v7, v0, v52 dst_sel:DWORD dst_unused:UNUSED_PAD src0_sel:WORD_1 src1_sel:DWORD
	v_mul_f16_sdwa v36, v1, v68 dst_sel:DWORD dst_unused:UNUSED_PAD src0_sel:WORD_1 src1_sel:DWORD
	v_lshrrev_b32_e32 v69, 16, v58
	v_fmac_f16_e32 v5, v0, v52
	v_mul_f16_sdwa v37, v1, v57 dst_sel:DWORD dst_unused:UNUSED_PAD src0_sel:WORD_1 src1_sel:DWORD
	v_fma_f16 v0, v0, v67, -v7
	v_fmac_f16_e32 v36, v1, v57
	v_mul_f16_sdwa v7, v3, v59 dst_sel:DWORD dst_unused:UNUSED_PAD src0_sel:WORD_1 src1_sel:DWORD
	v_mul_f16_sdwa v57, v3, v70 dst_sel:DWORD dst_unused:UNUSED_PAD src0_sel:WORD_1 src1_sel:DWORD
	v_lshrrev_b32_e32 v71, 16, v60
	v_mul_f16_sdwa v51, v2, v69 dst_sel:DWORD dst_unused:UNUSED_PAD src0_sel:WORD_1 src1_sel:DWORD
	v_fma_f16 v1, v1, v68, -v37
	v_mul_f16_sdwa v37, v2, v58 dst_sel:DWORD dst_unused:UNUSED_PAD src0_sel:WORD_1 src1_sel:DWORD
	v_add_f16_e32 v52, v64, v36
	v_fma_f16 v7, v3, v70, -v7
	v_fmac_f16_e32 v57, v3, v59
	v_fmac_f16_e32 v51, v2, v58
	v_mul_f16_sdwa v58, v50, v71 dst_sel:DWORD dst_unused:UNUSED_PAD src0_sel:WORD_1 src1_sel:DWORD
	v_add_f16_e32 v66, v32, v4
	v_fma_f16 v52, -0.5, v52, v32
	v_sub_f16_e32 v67, v63, v7
	v_fma_f16 v2, v2, v69, -v37
	v_add_f16_e32 v69, v4, v57
	v_fmac_f16_e32 v58, v50, v60
	v_add_f16_e32 v3, v66, v64
	v_fmamk_f16 v37, v67, 0xbb9c, v52
	v_sub_f16_e32 v59, v6, v1
	v_sub_f16_e32 v66, v4, v64
	;; [unrolled: 1-line block ×3, first 2 shown]
	v_mul_f16_sdwa v60, v50, v60 dst_sel:DWORD dst_unused:UNUSED_PAD src0_sel:WORD_1 src1_sel:DWORD
	v_fmac_f16_e32 v32, -0.5, v69
	v_fmac_f16_e32 v52, 0x3b9c, v67
	v_add_f16_e32 v70, v61, v63
	v_add_f16_e32 v3, v3, v36
	v_fmac_f16_e32 v37, 0xb8b4, v59
	v_add_f16_e32 v66, v66, v68
	v_fma_f16 v50, v50, v71, -v60
	v_fmamk_f16 v60, v59, 0x3b9c, v32
	v_fmac_f16_e32 v52, 0x38b4, v59
	v_fmac_f16_e32 v32, 0xbb9c, v59
	v_add_f16_e32 v59, v70, v6
	v_add_f16_e32 v3, v3, v57
	v_fmac_f16_e32 v37, 0x34f2, v66
	v_sub_f16_e32 v68, v64, v4
	v_sub_f16_e32 v69, v36, v57
	v_add_f16_e32 v71, v6, v1
	v_sub_f16_e32 v4, v4, v57
	v_fmac_f16_e32 v52, 0x34f2, v66
	v_add_f16_e32 v57, v59, v1
	v_add_f16_e32 v66, v63, v7
	v_fmac_f16_e32 v60, 0xb8b4, v67
	v_add_f16_e32 v68, v68, v69
	v_fma_f16 v69, -0.5, v71, v61
	v_fmac_f16_e32 v32, 0x38b4, v67
	v_sub_f16_e32 v36, v64, v36
	v_sub_f16_e32 v64, v63, v6
	;; [unrolled: 1-line block ×3, first 2 shown]
	v_fmac_f16_e32 v61, -0.5, v66
	v_add_f16_e32 v57, v57, v7
	v_sub_f16_e32 v6, v6, v63
	v_sub_f16_e32 v1, v1, v7
	v_add_f16_e32 v7, v72, v33
	v_fmamk_f16 v66, v36, 0xbb9c, v61
	v_fmac_f16_e32 v61, 0x3b9c, v36
	v_fmamk_f16 v59, v4, 0x3b9c, v69
	v_add_f16_e32 v1, v6, v1
	v_add_f16_e32 v6, v7, v5
	;; [unrolled: 1-line block ×3, first 2 shown]
	v_fmac_f16_e32 v69, 0xbb9c, v4
	v_fmac_f16_e32 v66, 0x38b4, v4
	;; [unrolled: 1-line block ×3, first 2 shown]
	v_add_f16_e32 v4, v6, v51
	v_fma_f16 v6, -0.5, v7, v72
	v_add_f16_e32 v7, v33, v58
	v_fmac_f16_e32 v59, 0x38b4, v36
	v_fmac_f16_e32 v69, 0xb8b4, v36
	v_sub_f16_e32 v36, v65, v50
	v_fmac_f16_e32 v66, 0x34f2, v1
	v_fmac_f16_e32 v61, 0x34f2, v1
	v_add_f16_e32 v1, v4, v58
	v_sub_f16_e32 v4, v0, v2
	v_fmac_f16_e32 v72, -0.5, v7
	v_add_f16_e32 v64, v64, v67
	v_fmamk_f16 v7, v36, 0xbb9c, v6
	v_fmac_f16_e32 v6, 0x3b9c, v36
	v_sub_f16_e32 v63, v33, v5
	v_fmamk_f16 v67, v4, 0x3b9c, v72
	v_fmac_f16_e32 v72, 0xbb9c, v4
	v_fmac_f16_e32 v59, 0x34f2, v64
	v_fmac_f16_e32 v69, 0x34f2, v64
	v_sub_f16_e32 v64, v58, v51
	v_fmac_f16_e32 v7, 0xb8b4, v4
	v_fmac_f16_e32 v6, 0x38b4, v4
	v_add_f16_e32 v4, v0, v2
	v_fmac_f16_e32 v60, 0x34f2, v68
	v_fmac_f16_e32 v32, 0x34f2, v68
	v_sub_f16_e32 v68, v5, v33
	v_sub_f16_e32 v70, v51, v58
	v_fmac_f16_e32 v67, 0xb8b4, v36
	v_fmac_f16_e32 v72, 0x38b4, v36
	v_add_f16_e32 v36, v65, v50
	v_add_f16_e32 v63, v63, v64
	v_fma_f16 v4, -0.5, v4, v62
	v_sub_f16_e32 v33, v33, v58
	v_add_f16_e32 v64, v68, v70
	v_add_f16_e32 v58, v62, v65
	v_sub_f16_e32 v5, v5, v51
	v_fmac_f16_e32 v62, -0.5, v36
	v_fmac_f16_e32 v7, 0x34f2, v63
	v_fmac_f16_e32 v6, 0x34f2, v63
	v_fmamk_f16 v36, v33, 0x3b9c, v4
	v_sub_f16_e32 v51, v65, v0
	v_sub_f16_e32 v63, v50, v2
	v_fmac_f16_e32 v67, 0x34f2, v64
	v_fmac_f16_e32 v72, 0x34f2, v64
	v_fmamk_f16 v64, v5, 0xbb9c, v62
	v_sub_f16_e32 v65, v0, v65
	v_sub_f16_e32 v68, v2, v50
	v_fmac_f16_e32 v62, 0x3b9c, v5
	v_fmac_f16_e32 v4, 0xbb9c, v33
	;; [unrolled: 1-line block ×3, first 2 shown]
	v_add_f16_e32 v51, v51, v63
	v_fmac_f16_e32 v64, 0x38b4, v33
	v_add_f16_e32 v63, v65, v68
	v_fmac_f16_e32 v62, 0xb8b4, v33
	v_fmac_f16_e32 v4, 0xb8b4, v5
	v_add_f16_e32 v0, v58, v0
	v_fmac_f16_e32 v36, 0x34f2, v51
	v_fmac_f16_e32 v64, 0x34f2, v63
	;; [unrolled: 1-line block ×4, first 2 shown]
	v_add_f16_e32 v0, v0, v2
	v_mul_f16_e32 v2, 0xb8b4, v36
	v_mul_f16_e32 v36, 0x3a79, v36
	;; [unrolled: 1-line block ×8, first 2 shown]
	v_add_f16_e32 v50, v0, v50
	v_fmac_f16_e32 v2, 0x3a79, v7
	v_fmac_f16_e32 v36, 0x38b4, v7
	;; [unrolled: 1-line block ×8, first 2 shown]
	v_add_f16_e32 v58, v3, v1
	v_add_f16_e32 v63, v37, v2
	;; [unrolled: 1-line block ×10, first 2 shown]
	v_sub_f16_e32 v3, v3, v1
	v_sub_f16_e32 v0, v37, v2
	;; [unrolled: 1-line block ×10, first 2 shown]
	v_pack_b32_f16 v6, v58, v6
	v_pack_b32_f16 v7, v63, v7
	;; [unrolled: 1-line block ×10, first 2 shown]
	ds_write2_b32 v49, v6, v7 offset1:6
	ds_write2_b32 v49, v32, v33 offset0:12 offset1:18
	ds_write2_b32 v49, v52, v2 offset0:24 offset1:30
	;; [unrolled: 1-line block ×4, first 2 shown]
	v_add_nc_u32_e32 v6, 0x500, v38
	v_add_nc_u32_e32 v7, 0xb00, v38
	s_waitcnt lgkmcnt(0)
	s_barrier
	buffer_gl0_inv
	ds_read2_b32 v[2:3], v38 offset1:180
	ds_read2_b32 v[32:33], v6 offset0:40 offset1:220
	ds_read2_b32 v[6:7], v7 offset0:16 offset1:196
	s_and_saveexec_b32 s1, vcc_lo
	s_cbranch_execz .LBB0_23
; %bb.22:
	v_add_nc_u32_e32 v0, 0x100, v38
	v_add_nc_u32_e32 v4, 0x700, v38
	ds_read2_b32 v[30:31], v29 offset0:60 offset1:240
	ds_read2_b32 v[0:1], v0 offset0:44 offset1:224
	;; [unrolled: 1-line block ×3, first 2 shown]
	s_waitcnt lgkmcnt(2)
	v_lshrrev_b32_e32 v35, 16, v30
	s_waitcnt lgkmcnt(1)
	v_lshrrev_b32_e32 v36, 16, v0
	v_lshrrev_b32_e32 v51, 16, v1
	s_waitcnt lgkmcnt(0)
	v_lshrrev_b32_e32 v50, 16, v4
	v_lshrrev_b32_e32 v37, 16, v5
	v_lshrrev_b32_e32 v34, 16, v31
.LBB0_23:
	s_or_b32 exec_lo, exec_lo, s1
	s_waitcnt lgkmcnt(2)
	v_lshrrev_b32_e32 v29, 16, v3
	s_waitcnt lgkmcnt(1)
	v_lshrrev_b32_e32 v52, 16, v32
	v_lshrrev_b32_e32 v57, 16, v33
	v_mul_f16_sdwa v60, v8, v3 dst_sel:DWORD dst_unused:UNUSED_PAD src0_sel:WORD_1 src1_sel:DWORD
	s_waitcnt lgkmcnt(0)
	v_lshrrev_b32_e32 v58, 16, v6
	v_mul_f16_sdwa v59, v8, v29 dst_sel:DWORD dst_unused:UNUSED_PAD src0_sel:WORD_1 src1_sel:DWORD
	v_mul_f16_sdwa v62, v9, v52 dst_sel:DWORD dst_unused:UNUSED_PAD src0_sel:WORD_1 src1_sel:DWORD
	v_lshrrev_b32_e32 v61, 16, v7
	v_mul_f16_sdwa v63, v9, v32 dst_sel:DWORD dst_unused:UNUSED_PAD src0_sel:WORD_1 src1_sel:DWORD
	v_lshrrev_b32_e32 v49, 16, v2
	v_fmac_f16_e32 v59, v8, v3
	v_fma_f16 v3, v8, v29, -v60
	v_mul_f16_sdwa v8, v10, v57 dst_sel:DWORD dst_unused:UNUSED_PAD src0_sel:WORD_1 src1_sel:DWORD
	v_fmac_f16_e32 v62, v9, v32
	v_mul_f16_sdwa v29, v10, v33 dst_sel:DWORD dst_unused:UNUSED_PAD src0_sel:WORD_1 src1_sel:DWORD
	v_mul_f16_sdwa v32, v11, v58 dst_sel:DWORD dst_unused:UNUSED_PAD src0_sel:WORD_1 src1_sel:DWORD
	v_fma_f16 v9, v9, v52, -v63
	v_fmac_f16_e32 v8, v10, v33
	v_mul_f16_sdwa v33, v11, v6 dst_sel:DWORD dst_unused:UNUSED_PAD src0_sel:WORD_1 src1_sel:DWORD
	v_fma_f16 v10, v10, v57, -v29
	v_mul_f16_sdwa v29, v55, v61 dst_sel:DWORD dst_unused:UNUSED_PAD src0_sel:WORD_1 src1_sel:DWORD
	v_fmac_f16_e32 v32, v11, v6
	v_mul_f16_sdwa v6, v55, v7 dst_sel:DWORD dst_unused:UNUSED_PAD src0_sel:WORD_1 src1_sel:DWORD
	v_fma_f16 v11, v11, v58, -v33
	v_mul_f16_sdwa v33, v12, v51 dst_sel:DWORD dst_unused:UNUSED_PAD src0_sel:WORD_1 src1_sel:DWORD
	v_fmac_f16_e32 v29, v55, v7
	v_mul_f16_sdwa v7, v12, v1 dst_sel:DWORD dst_unused:UNUSED_PAD src0_sel:WORD_1 src1_sel:DWORD
	v_mul_f16_sdwa v52, v13, v50 dst_sel:DWORD dst_unused:UNUSED_PAD src0_sel:WORD_1 src1_sel:DWORD
	v_fma_f16 v6, v55, v61, -v6
	v_fmac_f16_e32 v33, v12, v1
	v_mul_f16_sdwa v1, v13, v4 dst_sel:DWORD dst_unused:UNUSED_PAD src0_sel:WORD_1 src1_sel:DWORD
	v_fma_f16 v12, v12, v51, -v7
	v_mul_f16_sdwa v7, v14, v37 dst_sel:DWORD dst_unused:UNUSED_PAD src0_sel:WORD_1 src1_sel:DWORD
	v_fmac_f16_e32 v52, v13, v4
	v_mul_f16_sdwa v4, v14, v5 dst_sel:DWORD dst_unused:UNUSED_PAD src0_sel:WORD_1 src1_sel:DWORD
	v_fma_f16 v13, v13, v50, -v1
	v_mul_f16_sdwa v50, v15, v35 dst_sel:DWORD dst_unused:UNUSED_PAD src0_sel:WORD_1 src1_sel:DWORD
	v_mul_f16_sdwa v1, v15, v30 dst_sel:DWORD dst_unused:UNUSED_PAD src0_sel:WORD_1 src1_sel:DWORD
	v_fmac_f16_e32 v7, v14, v5
	v_fma_f16 v5, v14, v37, -v4
	v_mul_f16_sdwa v14, v54, v34 dst_sel:DWORD dst_unused:UNUSED_PAD src0_sel:WORD_1 src1_sel:DWORD
	v_fmac_f16_e32 v50, v15, v30
	v_mul_f16_sdwa v4, v54, v31 dst_sel:DWORD dst_unused:UNUSED_PAD src0_sel:WORD_1 src1_sel:DWORD
	v_fma_f16 v15, v15, v35, -v1
	v_add_f16_e32 v1, v62, v32
	v_fmac_f16_e32 v14, v54, v31
	v_add_f16_e32 v30, v2, v62
	v_fma_f16 v31, v54, v34, -v4
	v_add_f16_e32 v4, v9, v11
	v_fmac_f16_e32 v2, -0.5, v1
	v_sub_f16_e32 v1, v9, v11
	v_add_f16_e32 v30, v30, v32
	v_add_f16_e32 v9, v49, v9
	v_fmac_f16_e32 v49, -0.5, v4
	v_sub_f16_e32 v4, v62, v32
	v_fmamk_f16 v32, v1, 0xbaee, v2
	v_fmac_f16_e32 v2, 0x3aee, v1
	v_add_f16_e32 v1, v10, v6
	v_add_f16_e32 v34, v8, v29
	;; [unrolled: 1-line block ×4, first 2 shown]
	v_fmamk_f16 v11, v4, 0x3aee, v49
	v_fmac_f16_e32 v3, -0.5, v1
	v_sub_f16_e32 v1, v8, v29
	v_add_f16_e32 v8, v59, v8
	v_fmac_f16_e32 v59, -0.5, v34
	v_sub_f16_e32 v10, v10, v6
	v_fmac_f16_e32 v49, 0xbaee, v4
	v_fmamk_f16 v4, v1, 0x3aee, v3
	v_fmac_f16_e32 v3, 0xbaee, v1
	v_add_f16_e32 v1, v8, v29
	v_fmamk_f16 v8, v10, 0xbaee, v59
	v_fmac_f16_e32 v59, 0x3aee, v10
	v_mul_f16_e32 v10, 0xbaee, v4
	v_mul_f16_e32 v29, 0xbaee, v3
	v_mul_f16_e32 v3, -0.5, v3
	v_add_f16_e32 v6, v35, v6
	v_mul_f16_e32 v4, 0.5, v4
	v_fmac_f16_e32 v10, 0.5, v8
	v_fmac_f16_e32 v29, -0.5, v59
	v_fmac_f16_e32 v3, 0x3aee, v59
	v_add_f16_e32 v34, v30, v1
	v_fmac_f16_e32 v4, 0x3aee, v8
	v_add_f16_e32 v51, v9, v6
	v_sub_f16_e32 v30, v30, v1
	v_add_f16_e32 v55, v49, v3
	v_sub_f16_e32 v58, v9, v6
	;; [unrolled: 2-line block ×3, first 2 shown]
	v_add_f16_e32 v3, v13, v15
	v_add_f16_e32 v6, v36, v13
	;; [unrolled: 1-line block ×6, first 2 shown]
	v_sub_f16_e32 v32, v32, v10
	v_sub_f16_e32 v57, v2, v29
	;; [unrolled: 1-line block ×3, first 2 shown]
	v_add_f16_e32 v2, v0, v52
	v_fmac_f16_e32 v0, -0.5, v1
	v_sub_f16_e32 v4, v13, v15
	v_fmac_f16_e32 v36, -0.5, v3
	v_sub_f16_e32 v8, v52, v50
	v_add_f16_e32 v3, v6, v15
	v_add_f16_e32 v6, v7, v14
	v_add_f16_e32 v10, v12, v5
	v_fmac_f16_e32 v12, -0.5, v9
	v_sub_f16_e32 v9, v7, v14
	v_add_f16_e32 v1, v2, v50
	v_fmamk_f16 v2, v4, 0xbaee, v0
	v_fmac_f16_e32 v0, 0x3aee, v4
	v_fmamk_f16 v4, v8, 0x3aee, v36
	v_add_f16_e32 v7, v33, v7
	v_fmac_f16_e32 v33, -0.5, v6
	v_sub_f16_e32 v6, v5, v31
	v_fmac_f16_e32 v36, 0xbaee, v8
	v_fmamk_f16 v8, v9, 0x3aee, v12
	v_fmac_f16_e32 v12, 0xbaee, v9
	v_add_f16_e32 v5, v7, v14
	v_fmamk_f16 v9, v6, 0xbaee, v33
	v_fmac_f16_e32 v33, 0x3aee, v6
	v_mul_f16_e32 v6, 0xbaee, v8
	v_mul_f16_e32 v7, 0xbaee, v12
	v_mul_f16_e32 v14, 0.5, v8
	v_mul_f16_e32 v29, -0.5, v12
	v_add_f16_e32 v15, v10, v31
	v_fmac_f16_e32 v6, 0.5, v9
	v_fmac_f16_e32 v7, -0.5, v33
	v_fmac_f16_e32 v14, 0x3aee, v9
	v_fmac_f16_e32 v29, 0x3aee, v33
	v_sub_f16_e32 v8, v1, v5
	v_sub_f16_e32 v10, v2, v6
	;; [unrolled: 1-line block ×6, first 2 shown]
	v_pack_b32_f16 v31, v34, v51
	v_pack_b32_f16 v33, v35, v54
	;; [unrolled: 1-line block ×6, first 2 shown]
	v_add_nc_u32_e32 v37, 0x200, v53
	s_barrier
	buffer_gl0_inv
	ds_write2_b32 v53, v31, v33 offset1:60
	ds_write2_b32 v53, v34, v30 offset0:120 offset1:180
	ds_write2_b32 v37, v32, v35 offset0:112 offset1:172
	s_and_saveexec_b32 s1, vcc_lo
	s_cbranch_execz .LBB0_25
; %bb.24:
	v_mov_b32_e32 v30, 0x168
	v_add_f16_e32 v3, v3, v15
	v_add_f16_e32 v1, v1, v5
	;; [unrolled: 1-line block ×4, first 2 shown]
	v_mul_u32_u24_sdwa v30, v48, v30 dst_sel:DWORD dst_unused:UNUSED_PAD src0_sel:WORD_0 src1_sel:DWORD
	v_add_f16_e32 v29, v36, v29
	v_add_f16_e32 v0, v0, v7
	v_pack_b32_f16 v1, v1, v3
	v_pack_b32_f16 v2, v2, v4
	v_add_nc_u32_e32 v5, v30, v47
	v_perm_b32 v4, v9, v8, 0x5040100
	v_pack_b32_f16 v0, v0, v29
	v_perm_b32 v6, v13, v11, 0x5040100
	v_lshl_add_u32 v3, v5, 2, v46
	v_perm_b32 v5, v12, v10, 0x5040100
	v_add_nc_u32_e32 v7, 0x200, v3
	ds_write2_b32 v3, v1, v2 offset1:60
	ds_write2_b32 v3, v0, v4 offset0:120 offset1:180
	ds_write2_b32 v7, v5, v6 offset0:112 offset1:172
.LBB0_25:
	s_or_b32 exec_lo, exec_lo, s1
	v_add_nc_u32_e32 v14, 0x200, v38
	v_add_nc_u32_e32 v4, 0xa00, v38
	;; [unrolled: 1-line block ×3, first 2 shown]
	s_waitcnt lgkmcnt(0)
	s_barrier
	buffer_gl0_inv
	ds_read2_b32 v[2:3], v38 offset1:108
	ds_read2_b32 v[0:1], v14 offset0:88 offset1:232
	ds_read2_b32 v[6:7], v4 offset0:80 offset1:188
	;; [unrolled: 1-line block ×3, first 2 shown]
	ds_read_b32 v29, v38 offset:3744
	v_add_nc_u32_e32 v15, 0x360, v56
	s_and_saveexec_b32 s1, s0
	s_cbranch_execz .LBB0_27
; %bb.26:
	ds_read_b32 v8, v38 offset:1296
	ds_read_b32 v10, v38 offset:2736
	;; [unrolled: 1-line block ×3, first 2 shown]
	s_waitcnt lgkmcnt(2)
	v_lshrrev_b32_e32 v9, 16, v8
	s_waitcnt lgkmcnt(1)
	v_lshrrev_b32_e32 v12, 16, v10
	;; [unrolled: 2-line block ×3, first 2 shown]
.LBB0_27:
	s_or_b32 exec_lo, exec_lo, s1
	s_waitcnt lgkmcnt(3)
	v_lshrrev_b32_e32 v31, 16, v1
	s_waitcnt lgkmcnt(2)
	v_lshrrev_b32_e32 v32, 16, v6
	;; [unrolled: 2-line block ×3, first 2 shown]
	v_mul_f16_sdwa v47, v27, v1 dst_sel:DWORD dst_unused:UNUSED_PAD src0_sel:WORD_1 src1_sel:DWORD
	v_lshrrev_b32_e32 v35, 16, v7
	v_mul_f16_sdwa v37, v27, v31 dst_sel:DWORD dst_unused:UNUSED_PAD src0_sel:WORD_1 src1_sel:DWORD
	v_mul_f16_sdwa v49, v28, v32 dst_sel:DWORD dst_unused:UNUSED_PAD src0_sel:WORD_1 src1_sel:DWORD
	v_lshrrev_b32_e32 v46, 16, v5
	s_waitcnt lgkmcnt(0)
	v_lshrrev_b32_e32 v48, 16, v29
	v_lshrrev_b32_e32 v30, 16, v2
	v_fmac_f16_e32 v37, v27, v1
	v_mul_f16_sdwa v1, v28, v6 dst_sel:DWORD dst_unused:UNUSED_PAD src0_sel:WORD_1 src1_sel:DWORD
	v_fma_f16 v27, v27, v31, -v47
	v_mul_f16_sdwa v31, v25, v34 dst_sel:DWORD dst_unused:UNUSED_PAD src0_sel:WORD_1 src1_sel:DWORD
	v_fmac_f16_e32 v49, v28, v6
	v_mul_f16_sdwa v6, v25, v4 dst_sel:DWORD dst_unused:UNUSED_PAD src0_sel:WORD_1 src1_sel:DWORD
	v_fma_f16 v1, v28, v32, -v1
	v_mul_f16_sdwa v28, v26, v35 dst_sel:DWORD dst_unused:UNUSED_PAD src0_sel:WORD_1 src1_sel:DWORD
	;; [unrolled: 4-line block ×4, first 2 shown]
	v_fmac_f16_e32 v25, v23, v5
	v_mul_f16_sdwa v5, v24, v29 dst_sel:DWORD dst_unused:UNUSED_PAD src0_sel:WORD_1 src1_sel:DWORD
	v_fma_f16 v7, v23, v46, -v7
	v_add_f16_e32 v23, v37, v49
	v_fmac_f16_e32 v26, v24, v29
	v_add_f16_e32 v29, v2, v37
	v_fma_f16 v5, v24, v48, -v5
	v_add_f16_e32 v24, v27, v1
	v_fma_f16 v2, -0.5, v23, v2
	v_sub_f16_e32 v23, v27, v1
	v_add_f16_e32 v27, v30, v27
	v_lshrrev_b32_e32 v33, 16, v3
	v_fmac_f16_e32 v30, -0.5, v24
	v_sub_f16_e32 v24, v37, v49
	v_fmamk_f16 v32, v23, 0xbaee, v2
	v_fmac_f16_e32 v2, 0x3aee, v23
	v_add_f16_e32 v23, v31, v28
	v_add_f16_e32 v1, v27, v1
	v_fmamk_f16 v27, v24, 0x3aee, v30
	v_fmac_f16_e32 v30, 0xbaee, v24
	v_add_f16_e32 v24, v6, v4
	v_add_f16_e32 v34, v3, v31
	v_fmac_f16_e32 v3, -0.5, v23
	v_sub_f16_e32 v23, v6, v4
	v_add_f16_e32 v6, v33, v6
	v_lshrrev_b32_e32 v36, 16, v0
	v_fmac_f16_e32 v33, -0.5, v24
	v_sub_f16_e32 v24, v31, v28
	v_add_f16_e32 v31, v25, v26
	v_add_f16_e32 v35, v7, v5
	;; [unrolled: 1-line block ×5, first 2 shown]
	v_fmamk_f16 v28, v23, 0xbaee, v3
	v_fmac_f16_e32 v3, 0x3aee, v23
	v_add_f16_e32 v23, v0, v25
	v_fmac_f16_e32 v0, -0.5, v31
	v_sub_f16_e32 v31, v7, v5
	v_add_f16_e32 v7, v36, v7
	v_fmac_f16_e32 v36, -0.5, v35
	v_sub_f16_e32 v25, v25, v26
	v_fmamk_f16 v6, v24, 0x3aee, v33
	v_pack_b32_f16 v1, v29, v1
	v_pack_b32_f16 v4, v34, v4
	v_fmac_f16_e32 v33, 0xbaee, v24
	v_add_f16_e32 v23, v23, v26
	v_add_f16_e32 v5, v7, v5
	v_fmamk_f16 v24, v31, 0xbaee, v0
	v_fmamk_f16 v7, v25, 0x3aee, v36
	v_fmac_f16_e32 v0, 0x3aee, v31
	v_fmac_f16_e32 v36, 0xbaee, v25
	v_pack_b32_f16 v2, v2, v30
	ds_write2_b32 v38, v1, v4 offset1:108
	v_pack_b32_f16 v1, v28, v6
	v_add_nc_u32_e32 v4, 0x750, v38
	v_pack_b32_f16 v3, v3, v33
	v_pack_b32_f16 v25, v32, v27
	;; [unrolled: 1-line block ×5, first 2 shown]
	ds_write2_b32 v4, v1, v2 offset1:252
	ds_write_b32 v38, v3 offset:3312
	ds_write2_b32 v14, v5, v25 offset0:88 offset1:232
	ds_write_b32 v15, v6 offset:1440
	ds_write_b32 v15, v0 offset:2880
	s_and_saveexec_b32 s1, s0
	s_cbranch_execz .LBB0_29
; %bb.28:
	v_mul_f16_sdwa v0, v21, v10 dst_sel:DWORD dst_unused:UNUSED_PAD src0_sel:WORD_1 src1_sel:DWORD
	v_mul_f16_sdwa v1, v22, v11 dst_sel:DWORD dst_unused:UNUSED_PAD src0_sel:WORD_1 src1_sel:DWORD
	;; [unrolled: 1-line block ×4, first 2 shown]
	v_fma_f16 v0, v21, v12, -v0
	v_fma_f16 v1, v22, v13, -v1
	v_fmac_f16_e32 v2, v21, v10
	v_fmac_f16_e32 v3, v22, v11
	v_add_f16_e32 v7, v9, v0
	v_add_f16_e32 v4, v0, v1
	v_sub_f16_e32 v0, v0, v1
	v_add_f16_e32 v6, v2, v3
	v_sub_f16_e32 v5, v2, v3
	v_add_f16_e32 v2, v8, v2
	v_fma_f16 v4, -0.5, v4, v9
	v_add_f16_e32 v1, v7, v1
	v_fma_f16 v6, -0.5, v6, v8
	v_add_f16_e32 v2, v2, v3
	v_fmamk_f16 v3, v5, 0xbaee, v4
	v_fmac_f16_e32 v4, 0x3aee, v5
	v_fmamk_f16 v5, v0, 0x3aee, v6
	v_fmac_f16_e32 v6, 0xbaee, v0
	v_pack_b32_f16 v0, v2, v1
	v_pack_b32_f16 v2, v5, v3
	;; [unrolled: 1-line block ×3, first 2 shown]
	ds_write_b32 v38, v0 offset:1296
	ds_write_b32 v38, v1 offset:2736
	;; [unrolled: 1-line block ×3, first 2 shown]
.LBB0_29:
	s_or_b32 exec_lo, exec_lo, s1
	s_waitcnt lgkmcnt(0)
	s_barrier
	buffer_gl0_inv
	ds_read2_b32 v[0:1], v38 offset1:180
	v_add_nc_u32_e32 v4, 0x500, v38
	s_mov_b32 s4, 0xc901e574
	s_mov_b32 s5, 0x3f4e573a
	s_waitcnt lgkmcnt(0)
	v_lshrrev_b32_e32 v2, 16, v0
	v_mul_f16_sdwa v3, v44, v0 dst_sel:DWORD dst_unused:UNUSED_PAD src0_sel:WORD_1 src1_sel:DWORD
	v_lshrrev_b32_e32 v6, 16, v1
	v_mul_f16_sdwa v5, v45, v1 dst_sel:DWORD dst_unused:UNUSED_PAD src0_sel:WORD_1 src1_sel:DWORD
	v_mul_f16_sdwa v8, v44, v2 dst_sel:DWORD dst_unused:UNUSED_PAD src0_sel:WORD_1 src1_sel:DWORD
	v_fma_f16 v7, v44, v2, -v3
	v_mul_f16_sdwa v12, v45, v6 dst_sel:DWORD dst_unused:UNUSED_PAD src0_sel:WORD_1 src1_sel:DWORD
	v_fma_f16 v9, v45, v6, -v5
	ds_read2_b32 v[4:5], v4 offset0:40 offset1:220
	v_fmac_f16_e32 v8, v44, v0
	v_cvt_f32_f16_e32 v7, v7
	v_fmac_f16_e32 v12, v45, v1
	v_cvt_f32_f16_e32 v0, v9
	v_mad_u64_u32 v[2:3], null, s10, v20, 0
	v_cvt_f64_f32_e32 v[6:7], v7
	v_cvt_f32_f16_e32 v13, v8
	v_cvt_f64_f32_e32 v[10:11], v0
	v_cvt_f32_f16_e32 v14, v12
	v_mad_u64_u32 v[8:9], null, s8, v43, 0
	v_cvt_f64_f32_e32 v[0:1], v13
	s_waitcnt lgkmcnt(0)
	v_mad_u64_u32 v[12:13], null, s11, v20, v[3:4]
	v_cvt_f64_f32_e32 v[13:14], v14
	v_lshrrev_b32_e32 v15, 16, v4
	v_mov_b32_e32 v3, v12
	v_mul_f64 v[6:7], v[6:7], s[4:5]
	v_mul_f16_sdwa v12, v42, v15 dst_sel:DWORD dst_unused:UNUSED_PAD src0_sel:WORD_1 src1_sel:DWORD
	v_mad_u64_u32 v[20:21], null, s9, v43, v[9:10]
	v_mul_f64 v[10:11], v[10:11], s[4:5]
	v_lshlrev_b64 v[2:3], 2, v[2:3]
	v_mul_f64 v[0:1], v[0:1], s[4:5]
	v_fmac_f16_e32 v12, v42, v4
	v_mov_b32_e32 v9, v20
	v_mul_f16_sdwa v20, v42, v4 dst_sel:DWORD dst_unused:UNUSED_PAD src0_sel:WORD_1 src1_sel:DWORD
	v_add_co_u32 v4, s0, s2, v2
	v_add_co_ci_u32_e64 v21, s0, s3, v3, s0
	v_lshlrev_b64 v[8:9], 2, v[8:9]
	v_mul_f64 v[2:3], v[13:14], s[4:5]
	v_cvt_f32_f16_e32 v12, v12
	v_add_co_u32 v8, s0, v4, v8
	v_and_or_b32 v4, 0x1ff, v7, v6
	v_add_co_ci_u32_e64 v9, s0, v21, v9, s0
	v_and_or_b32 v10, 0x1ff, v11, v10
	v_and_or_b32 v0, 0x1ff, v1, v0
	v_cmp_ne_u32_e64 s0, 0, v4
	v_lshrrev_b32_e32 v23, 8, v1
	v_bfe_u32 v24, v1, 20, 11
	v_lshrrev_b32_e32 v6, 8, v7
	v_bfe_u32 v14, v7, 20, 11
	v_cndmask_b32_e64 v4, 0, 1, s0
	v_cmp_ne_u32_e64 s0, 0, v10
	v_bfe_u32 v22, v11, 20, 11
	v_sub_nc_u32_e32 v29, 0x3f1, v24
	v_lshrrev_b32_e32 v21, 8, v11
	v_and_or_b32 v2, 0x1ff, v3, v2
	v_cndmask_b32_e64 v10, 0, 1, s0
	v_cmp_ne_u32_e64 s0, 0, v0
	v_sub_nc_u32_e32 v25, 0x3f1, v14
	v_lshrrev_b32_e32 v26, 8, v3
	v_sub_nc_u32_e32 v28, 0x3f1, v22
	v_and_or_b32 v4, 0xffe, v6, v4
	v_cndmask_b32_e64 v0, 0, 1, s0
	v_cmp_ne_u32_e64 s0, 0, v2
	v_add_nc_u32_e32 v14, 0xfffffc10, v14
	v_med3_i32 v6, v25, 0, 13
	v_and_or_b32 v10, 0xffe, v21, v10
	v_and_or_b32 v0, 0xffe, v23, v0
	v_cndmask_b32_e64 v2, 0, 1, s0
	v_med3_i32 v23, v29, 0, 13
	v_med3_i32 v21, v28, 0, 13
	v_or_b32_e32 v28, 0x1000, v4
	v_or_b32_e32 v29, 0x1000, v0
	v_cmp_ne_u32_e64 s0, 0, v4
	v_and_or_b32 v2, 0xffe, v26, v2
	v_add_nc_u32_e32 v24, 0xfffffc10, v24
	v_lshl_or_b32 v30, v14, 12, v4
	v_lshrrev_b32_e32 v26, v23, v29
	v_cndmask_b32_e64 v4, 0, 1, s0
	v_lshrrev_b32_e32 v31, v6, v28
	v_cmp_ne_u32_e64 s0, 0, v0
	v_bfe_u32 v27, v3, 20, 11
	v_lshlrev_b32_e32 v23, v23, v26
	v_lshl_or_b32 v33, v24, 12, v0
	v_lshlrev_b32_e32 v6, v6, v31
	v_cndmask_b32_e64 v0, 0, 1, s0
	v_sub_nc_u32_e32 v25, 0x3f1, v27
	v_cmp_ne_u32_e64 s0, v23, v29
	v_add_nc_u32_e32 v27, 0xfffffc10, v27
	v_or_b32_e32 v32, 0x1000, v10
	v_lshl_or_b32 v0, v0, 9, 0x7c00
	v_med3_i32 v25, v25, 0, 13
	v_cndmask_b32_e64 v23, 0, 1, s0
	v_cmp_ne_u32_e64 s0, v6, v28
	v_or_b32_e32 v28, 0x1000, v2
	v_cvt_f64_f32_e32 v[12:13], v12
	v_lshl_or_b32 v29, v27, 12, v2
	v_or_b32_e32 v23, v26, v23
	v_cndmask_b32_e64 v6, 0, 1, s0
	v_cmp_gt_i32_e64 s0, 1, v24
	v_lshrrev_b32_e32 v26, v21, v32
	v_lshrrev_b32_e32 v1, 16, v1
	v_lshl_or_b32 v4, v4, 9, 0x7c00
	v_or_b32_e32 v6, v31, v6
	v_lshrrev_b32_e32 v31, v25, v28
	v_cndmask_b32_e64 v23, v33, v23, s0
	v_cmp_gt_i32_e64 s0, 1, v14
	v_lshlrev_b32_e32 v21, v21, v26
	v_lshrrev_b32_e32 v7, 16, v7
	v_lshlrev_b32_e32 v25, v25, v31
	v_add_nc_u32_e32 v22, 0xfffffc10, v22
	v_cndmask_b32_e64 v6, v30, v6, s0
	v_and_b32_e32 v30, 7, v23
	v_lshrrev_b32_e32 v23, 2, v23
	v_cmp_ne_u32_e64 s0, v25, v28
	v_lshrrev_b32_e32 v3, 16, v3
	v_and_b32_e32 v33, 7, v6
	v_cmp_eq_u32_e64 s1, 3, v30
	v_lshrrev_b32_e32 v6, 2, v6
	v_cndmask_b32_e64 v25, 0, 1, s0
	v_cmp_lt_i32_e64 s0, 5, v30
	v_cmp_lt_i32_e64 s2, 5, v33
	v_cmp_eq_u32_e64 s3, 3, v33
	v_lshrrev_b32_e32 v11, 16, v11
	v_or_b32_e32 v25, v31, v25
	s_or_b32 s0, s1, s0
	v_add_co_ci_u32_e64 v23, s0, 0, v23, s0
	s_or_b32 s0, s3, s2
	v_cmp_gt_i32_e64 s2, 1, v22
	v_add_co_ci_u32_e64 v6, s0, 0, v6, s0
	v_cmp_gt_i32_e64 s0, 31, v24
	v_cndmask_b32_e64 v23, 0x7c00, v23, s0
	v_cmp_gt_i32_e64 s0, 31, v14
	v_cndmask_b32_e64 v6, 0x7c00, v6, s0
	v_cmp_eq_u32_e64 s0, 0x40f, v24
	v_cndmask_b32_e64 v0, v23, v0, s0
	v_cmp_gt_i32_e64 s0, 1, v27
	v_and_or_b32 v0, 0x8000, v1, v0
	v_cndmask_b32_e64 v23, v29, v25, s0
	v_cmp_eq_u32_e64 s0, 0x40f, v14
	v_and_b32_e32 v14, 7, v23
	v_cndmask_b32_e64 v4, v6, v4, s0
	v_cmp_ne_u32_e64 s0, v21, v32
	v_cmp_eq_u32_e64 s1, 3, v14
	v_and_or_b32 v4, 0x8000, v7, v4
	v_cndmask_b32_e64 v6, 0, 1, s0
	v_and_b32_e32 v7, 0xffff, v0
	v_mul_f64 v[0:1], v[12:13], s[4:5]
	v_cmp_lt_i32_e64 s0, 5, v14
	v_lshl_or_b32 v12, v22, 12, v10
	v_or_b32_e32 v6, v26, v6
	v_lshl_or_b32 v4, v4, 16, v7
	v_lshrrev_b32_e32 v7, 2, v23
	s_or_b32 s0, s1, s0
	v_fma_f16 v13, v42, v15, -v20
	v_cndmask_b32_e64 v12, v12, v6, s2
	v_cmp_eq_u32_e64 s2, 0x40f, v27
	v_add_co_ci_u32_e64 v6, s0, 0, v7, s0
	v_cmp_ne_u32_e64 s0, 0, v2
	v_cvt_f32_f16_e32 v7, v13
	v_and_b32_e32 v13, 7, v12
	v_lshrrev_b32_e32 v12, 2, v12
	global_store_dword v[8:9], v4, off
	v_cndmask_b32_e64 v2, 0, 1, s0
	v_cmp_gt_i32_e64 s0, 31, v27
	v_cmp_eq_u32_e64 s1, 3, v13
	v_and_or_b32 v0, 0x1ff, v1, v0
	v_cndmask_b32_e64 v14, 0x7c00, v6, s0
	v_cvt_f64_f32_e32 v[6:7], v7
	v_cmp_lt_i32_e64 s0, 5, v13
	v_lshl_or_b32 v2, v2, 9, 0x7c00
	v_lshrrev_b32_e32 v13, 8, v1
	s_or_b32 s0, s1, s0
	v_cndmask_b32_e64 v2, v14, v2, s2
	v_add_co_ci_u32_e64 v12, s0, 0, v12, s0
	v_cmp_ne_u32_e64 s0, 0, v0
	v_bfe_u32 v14, v1, 20, 11
	v_and_or_b32 v4, 0x8000, v3, v2
	s_mul_i32 s1, s9, 0xb4
	s_mul_hi_u32 s2, s8, 0xb4
	v_cndmask_b32_e64 v0, 0, 1, s0
	v_cmp_gt_i32_e64 s0, 31, v22
	v_sub_nc_u32_e32 v15, 0x3f1, v14
	v_add_nc_u32_e32 v14, 0xfffffc10, v14
	v_and_b32_e32 v4, 0xffff, v4
	v_and_or_b32 v0, 0xffe, v13, v0
	v_cndmask_b32_e64 v12, 0x7c00, v12, s0
	v_cmp_ne_u32_e64 s0, 0, v10
	v_lshrrev_b32_e32 v13, 16, v5
	v_mul_f64 v[6:7], v[6:7], s[4:5]
	v_or_b32_e32 v20, 0x1000, v0
	v_med3_i32 v15, v15, 0, 13
	v_cndmask_b32_e64 v10, 0, 1, s0
	v_mul_f16_sdwa v21, v41, v13 dst_sel:DWORD dst_unused:UNUSED_PAD src0_sel:WORD_1 src1_sel:DWORD
	v_cmp_eq_u32_e64 s0, 0x40f, v22
	s_add_i32 s3, s2, s1
	s_mul_i32 s2, s8, 0xb4
	v_lshl_or_b32 v10, v10, 9, 0x7c00
	v_fmac_f16_e32 v21, v41, v5
	s_lshl_b64 s[20:21], s[2:3], 2
	v_mul_f16_sdwa v22, v41, v5 dst_sel:DWORD dst_unused:UNUSED_PAD src0_sel:WORD_1 src1_sel:DWORD
	v_lshrrev_b32_e32 v1, 16, v1
	v_cndmask_b32_e64 v10, v12, v10, s0
	v_lshrrev_b32_e32 v12, v15, v20
	v_cvt_f32_f16_e32 v2, v21
	v_and_or_b32 v10, 0x8000, v11, v10
	v_lshlrev_b32_e32 v15, v15, v12
	v_cvt_f64_f32_e32 v[2:3], v2
	v_and_or_b32 v6, 0x1ff, v7, v6
	v_cmp_ne_u32_e64 s0, v15, v20
	v_lshrrev_b32_e32 v15, 8, v7
	v_bfe_u32 v20, v7, 20, 11
	v_lshrrev_b32_e32 v7, 16, v7
	v_cndmask_b32_e64 v11, 0, 1, s0
	v_cmp_ne_u32_e64 s0, 0, v6
	v_or_b32_e32 v11, v12, v11
	v_lshl_or_b32 v12, v14, 12, v0
	v_cndmask_b32_e64 v6, 0, 1, s0
	v_cmp_gt_i32_e64 s0, 1, v14
	v_and_or_b32 v6, 0xffe, v15, v6
	v_cndmask_b32_e64 v11, v12, v11, s0
	v_sub_nc_u32_e32 v12, 0x3f1, v20
	v_mul_f64 v[2:3], v[2:3], s[4:5]
	v_lshl_or_b32 v15, v10, 16, v4
	v_or_b32_e32 v21, 0x1000, v6
	v_and_b32_e32 v10, 7, v11
	v_med3_i32 v12, v12, 0, 13
	v_add_co_u32 v4, s0, v8, s20
	v_add_co_ci_u32_e64 v5, s0, s21, v9, s0
	v_lshrrev_b32_e32 v23, v12, v21
	v_cmp_lt_i32_e64 s0, 5, v10
	v_cmp_eq_u32_e64 s1, 3, v10
	v_lshrrev_b32_e32 v9, 2, v11
	v_fma_f16 v8, v41, v13, -v22
	v_lshlrev_b32_e32 v10, v12, v23
	v_add_nc_u32_e32 v11, 0xb00, v38
	s_or_b32 s0, s1, s0
	v_add_co_ci_u32_e64 v13, s0, 0, v9, s0
	v_cmp_ne_u32_e64 s0, v10, v21
	v_cvt_f32_f16_e32 v12, v8
	v_and_or_b32 v2, 0x1ff, v3, v2
	ds_read2_b32 v[8:9], v11 offset0:16 offset1:196
	v_lshrrev_b32_e32 v22, 8, v3
	v_cndmask_b32_e64 v21, 0, 1, s0
	v_cmp_gt_i32_e64 s0, 31, v14
	v_cvt_f64_f32_e32 v[10:11], v12
	v_add_nc_u32_e32 v12, 0xfffffc10, v20
	v_or_b32_e32 v20, v23, v21
	v_cndmask_b32_e64 v13, 0x7c00, v13, s0
	v_cmp_ne_u32_e64 s0, 0, v2
	v_lshl_or_b32 v21, v12, 12, v6
	v_bfe_u32 v23, v3, 20, 11
	v_cndmask_b32_e64 v2, 0, 1, s0
	v_cmp_ne_u32_e64 s0, 0, v0
	v_and_or_b32 v2, 0xffe, v22, v2
	v_cndmask_b32_e64 v0, 0, 1, s0
	v_cmp_gt_i32_e64 s0, 1, v12
	s_waitcnt lgkmcnt(0)
	v_lshrrev_b32_e32 v22, 16, v8
	v_or_b32_e32 v25, 0x1000, v2
	v_lshl_or_b32 v0, v0, 9, 0x7c00
	v_cndmask_b32_e64 v20, v21, v20, s0
	v_sub_nc_u32_e32 v21, 0x3f1, v23
	v_cmp_eq_u32_e64 s0, 0x40f, v14
	v_mul_f64 v[10:11], v[10:11], s[4:5]
	v_mul_f16_sdwa v26, v40, v22 dst_sel:DWORD dst_unused:UNUSED_PAD src0_sel:WORD_1 src1_sel:DWORD
	v_and_b32_e32 v24, 7, v20
	v_med3_i32 v21, v21, 0, 13
	v_cndmask_b32_e64 v0, v13, v0, s0
	v_add_nc_u32_e32 v23, 0xfffffc10, v23
	v_fmac_f16_e32 v26, v40, v8
	v_cmp_lt_i32_e64 s0, 5, v24
	v_lshrrev_b32_e32 v13, v21, v25
	v_cmp_eq_u32_e64 s1, 3, v24
	v_and_or_b32 v14, 0x8000, v1, v0
	v_lshrrev_b32_e32 v0, 2, v20
	v_cvt_f32_f16_e32 v20, v26
	v_lshlrev_b32_e32 v1, v21, v13
	s_or_b32 s0, s1, s0
	v_mul_f16_sdwa v8, v40, v8 dst_sel:DWORD dst_unused:UNUSED_PAD src0_sel:WORD_1 src1_sel:DWORD
	v_add_co_ci_u32_e64 v21, s0, 0, v0, s0
	v_cmp_ne_u32_e64 s0, v1, v25
	v_cvt_f64_f32_e32 v[0:1], v20
	v_lshl_or_b32 v20, v23, 12, v2
	v_fma_f16 v8, v40, v22, -v8
	v_and_or_b32 v10, 0x1ff, v11, v10
	v_cndmask_b32_e64 v24, 0, 1, s0
	v_cmp_ne_u32_e64 s0, 0, v6
	v_lshrrev_b32_e32 v22, 16, v3
	v_or_b32_e32 v13, v13, v24
	v_cndmask_b32_e64 v6, 0, 1, s0
	v_cmp_gt_i32_e64 s0, 31, v12
	v_bfe_u32 v24, v11, 20, 11
	v_lshl_or_b32 v6, v6, 9, 0x7c00
	v_cndmask_b32_e64 v21, 0x7c00, v21, s0
	v_cmp_gt_i32_e64 s0, 1, v23
	v_cndmask_b32_e64 v13, v20, v13, s0
	v_cmp_ne_u32_e64 s0, 0, v10
	v_lshrrev_b32_e32 v20, 8, v11
	v_mul_f64 v[0:1], v[0:1], s[4:5]
	v_and_b32_e32 v25, 7, v13
	v_cndmask_b32_e64 v10, 0, 1, s0
	v_cmp_eq_u32_e64 s0, 0x40f, v12
	v_sub_nc_u32_e32 v12, 0x3f1, v24
	v_cmp_eq_u32_e64 s1, 3, v25
	v_and_or_b32 v10, 0xffe, v20, v10
	v_cndmask_b32_e64 v6, v21, v6, s0
	v_cmp_lt_i32_e64 s0, 5, v25
	v_med3_i32 v12, v12, 0, 13
	v_or_b32_e32 v20, 0x1000, v10
	v_and_or_b32 v6, 0x8000, v7, v6
	v_lshrrev_b32_e32 v7, 2, v13
	s_or_b32 s0, s1, s0
	v_and_b32_e32 v13, 0xffff, v14
	v_lshrrev_b32_e32 v14, v12, v20
	v_add_co_ci_u32_e64 v7, s0, 0, v7, s0
	v_cmp_ne_u32_e64 s0, 0, v2
	v_lshl_or_b32 v21, v6, 16, v13
	v_lshlrev_b32_e32 v6, v12, v14
	v_and_or_b32 v0, 0x1ff, v1, v0
	v_cndmask_b32_e64 v2, 0, 1, s0
	v_cmp_gt_i32_e64 s0, 31, v23
	v_lshl_or_b32 v2, v2, 9, 0x7c00
	v_cndmask_b32_e64 v7, 0x7c00, v7, s0
	v_cmp_ne_u32_e64 s0, v6, v20
	v_add_nc_u32_e32 v20, 0xfffffc10, v24
	v_cndmask_b32_e64 v6, 0, 1, s0
	v_cmp_eq_u32_e64 s0, 0x40f, v23
	v_lshl_or_b32 v13, v20, 12, v10
	v_cndmask_b32_e64 v12, v7, v2, s0
	v_cmp_ne_u32_e64 s0, 0, v0
	v_or_b32_e32 v2, v14, v6
	v_cvt_f32_f16_e32 v6, v8
	v_lshrrev_b32_e32 v8, 8, v1
	v_bfe_u32 v14, v1, 20, 11
	v_cndmask_b32_e64 v0, 0, 1, s0
	v_cmp_gt_i32_e64 s0, 1, v20
	v_cvt_f64_f32_e32 v[6:7], v6
	v_and_or_b32 v22, 0x8000, v22, v12
	v_lshrrev_b32_e32 v1, 16, v1
	v_and_or_b32 v0, 0xffe, v8, v0
	v_cndmask_b32_e64 v13, v13, v2, s0
	v_sub_nc_u32_e32 v2, 0x3f1, v14
	v_lshrrev_b32_e32 v8, 16, v9
	v_add_nc_u32_e32 v14, 0xfffffc10, v14
	v_or_b32_e32 v24, 0x1000, v0
	v_and_b32_e32 v23, 7, v13
	v_med3_i32 v25, v2, 0, 13
	v_mul_f16_sdwa v26, v39, v8 dst_sel:DWORD dst_unused:UNUSED_PAD src0_sel:WORD_1 src1_sel:DWORD
	v_add_co_u32 v2, s0, v4, s20
	v_add_co_ci_u32_e64 v3, s0, s21, v5, s0
	v_lshrrev_b32_e32 v27, v25, v24
	v_cmp_lt_i32_e64 s0, 5, v23
	v_cmp_eq_u32_e64 s1, 3, v23
	v_fmac_f16_e32 v26, v39, v9
	v_lshrrev_b32_e32 v12, 2, v13
	v_lshlrev_b32_e32 v23, v25, v27
	v_mul_f64 v[6:7], v[6:7], s[4:5]
	s_or_b32 s0, s1, s0
	v_cvt_f32_f16_e32 v13, v26
	v_add_co_ci_u32_e64 v25, s0, 0, v12, s0
	v_cmp_ne_u32_e64 s0, v23, v24
	v_mul_f16_sdwa v9, v39, v9 dst_sel:DWORD dst_unused:UNUSED_PAD src0_sel:WORD_1 src1_sel:DWORD
	v_cvt_f64_f32_e32 v[12:13], v13
	v_lshl_or_b32 v24, v14, 12, v0
	v_and_b32_e32 v22, 0xffff, v22
	v_cndmask_b32_e64 v23, 0, 1, s0
	v_cmp_ne_u32_e64 s0, 0, v10
	v_fma_f16 v8, v39, v8, -v9
	v_or_b32_e32 v23, v27, v23
	v_cndmask_b32_e64 v10, 0, 1, s0
	v_cmp_gt_i32_e64 s0, 31, v20
	v_cvt_f32_f16_e32 v8, v8
	v_lshl_or_b32 v10, v10, 9, 0x7c00
	v_cndmask_b32_e64 v9, 0x7c00, v25, s0
	v_cmp_gt_i32_e64 s0, 1, v14
	v_and_or_b32 v6, 0x1ff, v7, v6
	v_cndmask_b32_e64 v23, v24, v23, s0
	v_cmp_eq_u32_e64 s0, 0x40f, v20
	v_lshrrev_b32_e32 v24, 16, v11
	v_and_b32_e32 v25, 7, v23
	v_cndmask_b32_e64 v20, v9, v10, s0
	v_mul_f64 v[10:11], v[12:13], s[4:5]
	v_cvt_f64_f32_e32 v[8:9], v8
	v_cmp_ne_u32_e64 s0, 0, v6
	v_lshrrev_b32_e32 v12, 8, v7
	v_and_or_b32 v20, 0x8000, v24, v20
	v_bfe_u32 v13, v7, 20, 11
	v_cmp_eq_u32_e64 s1, 3, v25
	v_cndmask_b32_e64 v6, 0, 1, s0
	v_cmp_lt_i32_e64 s0, 5, v25
	v_lshl_or_b32 v20, v20, 16, v22
	v_lshrrev_b32_e32 v22, 2, v23
	v_lshrrev_b32_e32 v7, 16, v7
	v_and_or_b32 v6, 0xffe, v12, v6
	v_sub_nc_u32_e32 v12, 0x3f1, v13
	s_or_b32 s0, s1, s0
	v_add_nc_u32_e32 v13, 0xfffffc10, v13
	v_add_co_ci_u32_e64 v22, s0, 0, v22, s0
	v_or_b32_e32 v23, 0x1000, v6
	v_med3_i32 v12, v12, 0, 13
	v_cmp_ne_u32_e64 s0, 0, v0
	v_and_or_b32 v10, 0x1ff, v11, v10
	v_mul_f64 v[8:9], v[8:9], s[4:5]
	v_lshrrev_b32_e32 v24, v12, v23
	v_cndmask_b32_e64 v0, 0, 1, s0
	v_cmp_gt_i32_e64 s0, 31, v14
	v_lshrrev_b32_e32 v25, 8, v11
	v_bfe_u32 v26, v11, 20, 11
	v_lshlrev_b32_e32 v12, v12, v24
	v_lshl_or_b32 v0, v0, 9, 0x7c00
	v_cndmask_b32_e64 v22, 0x7c00, v22, s0
	v_cmp_ne_u32_e64 s0, 0, v10
	v_lshrrev_b32_e32 v11, 16, v11
	v_cndmask_b32_e64 v10, 0, 1, s0
	v_cmp_ne_u32_e64 s0, v12, v23
	v_sub_nc_u32_e32 v23, 0x3f1, v26
	v_and_or_b32 v10, 0xffe, v25, v10
	v_cndmask_b32_e64 v12, 0, 1, s0
	v_cmp_eq_u32_e64 s0, 0x40f, v14
	v_lshl_or_b32 v14, v13, 12, v6
	v_med3_i32 v23, v23, 0, 13
	v_and_or_b32 v8, 0x1ff, v9, v8
	v_or_b32_e32 v12, v24, v12
	v_cndmask_b32_e64 v0, v22, v0, s0
	v_or_b32_e32 v22, 0x1000, v10
	v_cmp_gt_i32_e64 s0, 1, v13
	v_lshrrev_b32_e32 v24, 8, v9
	v_bfe_u32 v25, v9, 20, 11
	v_and_or_b32 v0, 0x8000, v1, v0
	v_cndmask_b32_e64 v12, v14, v12, s0
	v_lshrrev_b32_e32 v14, v23, v22
	v_cmp_ne_u32_e64 s0, 0, v8
	v_and_b32_e32 v0, 0xffff, v0
	v_and_b32_e32 v27, 7, v12
	v_lshlrev_b32_e32 v23, v23, v14
	v_cndmask_b32_e64 v8, 0, 1, s0
	v_lshrrev_b32_e32 v12, 2, v12
	v_cmp_lt_i32_e64 s0, 5, v27
	v_cmp_ne_u32_e64 s1, v23, v22
	v_and_or_b32 v1, 0xffe, v24, v8
	v_sub_nc_u32_e32 v8, 0x3f1, v25
	v_add_nc_u32_e32 v24, 0xfffffc10, v26
	v_cndmask_b32_e64 v22, 0, 1, s1
	v_cmp_eq_u32_e64 s1, 3, v27
	v_or_b32_e32 v23, 0x1000, v1
	v_med3_i32 v8, v8, 0, 13
	v_lshl_or_b32 v26, v24, 12, v10
	v_or_b32_e32 v14, v14, v22
	s_or_b32 s0, s1, s0
	v_add_co_ci_u32_e64 v12, s0, 0, v12, s0
	v_lshrrev_b32_e32 v22, v8, v23
	v_cmp_gt_i32_e64 s0, 1, v24
	v_lshlrev_b32_e32 v8, v8, v22
	v_cndmask_b32_e64 v14, v26, v14, s0
	v_cmp_ne_u32_e64 s0, 0, v6
	v_cndmask_b32_e64 v6, 0, 1, s0
	v_cmp_ne_u32_e64 s0, v8, v23
	v_add_nc_u32_e32 v23, 0xfffffc10, v25
	v_and_b32_e32 v25, 7, v14
	v_lshl_or_b32 v6, v6, 9, 0x7c00
	v_cndmask_b32_e64 v8, 0, 1, s0
	v_cmp_gt_i32_e64 s0, 31, v13
	v_cmp_gt_i32_e64 s2, 1, v23
	v_cmp_eq_u32_e64 s1, 3, v25
	v_or_b32_e32 v8, v22, v8
	v_lshl_or_b32 v22, v23, 12, v1
	v_cndmask_b32_e64 v12, 0x7c00, v12, s0
	v_cmp_lt_i32_e64 s0, 5, v25
	v_cndmask_b32_e64 v8, v22, v8, s2
	v_cmp_eq_u32_e64 s2, 0x40f, v13
	s_or_b32 s0, s1, s0
	v_and_b32_e32 v13, 7, v8
	v_cndmask_b32_e64 v6, v12, v6, s2
	v_lshrrev_b32_e32 v12, 2, v14
	v_lshrrev_b32_e32 v8, 2, v8
	v_cmp_gt_i32_e64 s2, 31, v24
	v_cmp_eq_u32_e64 s1, 3, v13
	v_add_co_ci_u32_e64 v12, s0, 0, v12, s0
	v_cmp_ne_u32_e64 s0, 0, v10
	v_cndmask_b32_e64 v12, 0x7c00, v12, s2
	v_cndmask_b32_e64 v10, 0, 1, s0
	v_cmp_lt_i32_e64 s0, 5, v13
	v_lshl_or_b32 v10, v10, 9, 0x7c00
	s_or_b32 s0, s1, s0
	v_add_co_ci_u32_e64 v8, s0, 0, v8, s0
	v_cmp_ne_u32_e64 s0, 0, v1
	v_cndmask_b32_e64 v1, 0, 1, s0
	v_cmp_eq_u32_e64 s0, 0x40f, v24
	v_lshl_or_b32 v1, v1, 9, 0x7c00
	v_cndmask_b32_e64 v10, v12, v10, s0
	v_cmp_gt_i32_e64 s0, 31, v23
	v_and_or_b32 v12, 0x8000, v7, v6
	v_and_or_b32 v10, 0x8000, v11, v10
	v_cndmask_b32_e64 v8, 0x7c00, v8, s0
	v_cmp_eq_u32_e64 s0, 0x40f, v23
	v_lshl_or_b32 v11, v12, 16, v0
	v_cndmask_b32_e64 v1, v8, v1, s0
	v_lshrrev_b32_e32 v8, 16, v9
	v_add_co_u32 v6, s0, v2, s20
	v_add_co_ci_u32_e64 v7, s0, s21, v3, s0
	v_and_or_b32 v0, 0x8000, v8, v1
	v_and_b32_e32 v1, 0xffff, v10
	v_add_co_u32 v8, s0, v6, s20
	v_add_co_ci_u32_e64 v9, s0, s21, v7, s0
	v_lshl_or_b32 v10, v0, 16, v1
	v_add_co_u32 v0, s0, v8, s20
	v_add_co_ci_u32_e64 v1, s0, s21, v9, s0
	global_store_dword v[4:5], v15, off
	global_store_dword v[2:3], v21, off
	;; [unrolled: 1-line block ×5, first 2 shown]
	s_and_b32 exec_lo, exec_lo, vcc_lo
	s_cbranch_execz .LBB0_31
; %bb.30:
	s_clause 0x5
	global_load_dword v8, v[18:19], off offset:432
	global_load_dword v9, v[18:19], off offset:1152
	;; [unrolled: 1-line block ×6, first 2 shown]
	v_add_nc_u32_e32 v2, 0x100, v38
	v_add_nc_u32_e32 v4, 0x700, v38
	;; [unrolled: 1-line block ×3, first 2 shown]
	v_mad_u64_u32 v[0:1], null, 0xfffff3a0, s8, v[0:1]
	ds_read2_b32 v[2:3], v2 offset0:44 offset1:224
	ds_read2_b32 v[4:5], v4 offset0:20 offset1:200
	;; [unrolled: 1-line block ×3, first 2 shown]
	s_mul_i32 s0, s9, 0xfffff3a0
	s_sub_i32 s0, s0, s8
	v_add_nc_u32_e32 v1, s0, v1
	s_waitcnt lgkmcnt(2)
	v_lshrrev_b32_e32 v14, 16, v2
	v_lshrrev_b32_e32 v15, 16, v3
	s_waitcnt lgkmcnt(1)
	v_lshrrev_b32_e32 v16, 16, v4
	v_lshrrev_b32_e32 v17, 16, v5
	;; [unrolled: 3-line block ×3, first 2 shown]
	s_waitcnt vmcnt(5)
	v_mul_f16_sdwa v20, v14, v8 dst_sel:DWORD dst_unused:UNUSED_PAD src0_sel:DWORD src1_sel:WORD_1
	v_mul_f16_sdwa v21, v2, v8 dst_sel:DWORD dst_unused:UNUSED_PAD src0_sel:DWORD src1_sel:WORD_1
	s_waitcnt vmcnt(4)
	v_mul_f16_sdwa v22, v15, v9 dst_sel:DWORD dst_unused:UNUSED_PAD src0_sel:DWORD src1_sel:WORD_1
	v_mul_f16_sdwa v23, v3, v9 dst_sel:DWORD dst_unused:UNUSED_PAD src0_sel:DWORD src1_sel:WORD_1
	s_waitcnt vmcnt(3)
	v_mul_f16_sdwa v24, v16, v10 dst_sel:DWORD dst_unused:UNUSED_PAD src0_sel:DWORD src1_sel:WORD_1
	v_fmac_f16_e32 v20, v2, v8
	v_fma_f16 v2, v8, v14, -v21
	v_fmac_f16_e32 v22, v3, v9
	v_mul_f16_sdwa v25, v4, v10 dst_sel:DWORD dst_unused:UNUSED_PAD src0_sel:DWORD src1_sel:WORD_1
	s_waitcnt vmcnt(2)
	v_mul_f16_sdwa v26, v17, v11 dst_sel:DWORD dst_unused:UNUSED_PAD src0_sel:DWORD src1_sel:WORD_1
	v_cvt_f32_f16_e32 v3, v20
	s_waitcnt vmcnt(1)
	v_mul_f16_sdwa v28, v18, v12 dst_sel:DWORD dst_unused:UNUSED_PAD src0_sel:DWORD src1_sel:WORD_1
	v_fmac_f16_e32 v24, v4, v10
	v_cvt_f32_f16_e32 v4, v2
	v_mul_f16_sdwa v27, v5, v11 dst_sel:DWORD dst_unused:UNUSED_PAD src0_sel:DWORD src1_sel:WORD_1
	v_cvt_f64_f32_e32 v[2:3], v3
	v_mul_f16_sdwa v29, v6, v12 dst_sel:DWORD dst_unused:UNUSED_PAD src0_sel:DWORD src1_sel:WORD_1
	s_waitcnt vmcnt(0)
	v_mul_f16_sdwa v30, v19, v13 dst_sel:DWORD dst_unused:UNUSED_PAD src0_sel:DWORD src1_sel:WORD_1
	v_fma_f16 v8, v9, v15, -v23
	v_fmac_f16_e32 v26, v5, v11
	v_fmac_f16_e32 v28, v6, v12
	v_cvt_f32_f16_e32 v6, v22
	v_cvt_f64_f32_e32 v[4:5], v4
	v_mul_f16_sdwa v31, v7, v13 dst_sel:DWORD dst_unused:UNUSED_PAD src0_sel:DWORD src1_sel:WORD_1
	v_fma_f16 v9, v10, v16, -v25
	v_fmac_f16_e32 v30, v7, v13
	v_cvt_f32_f16_e32 v8, v8
	v_cvt_f64_f32_e32 v[6:7], v6
	v_fma_f16 v10, v11, v17, -v27
	v_fma_f16 v11, v12, v18, -v29
	;; [unrolled: 1-line block ×3, first 2 shown]
	v_cvt_f32_f16_e32 v13, v24
	v_cvt_f32_f16_e32 v14, v9
	v_cvt_f64_f32_e32 v[8:9], v8
	v_cvt_f32_f16_e32 v16, v10
	v_cvt_f32_f16_e32 v20, v11
	v_cvt_f64_f32_e32 v[10:11], v13
	v_mul_f64 v[2:3], v[2:3], s[4:5]
	v_cvt_f32_f16_e32 v15, v26
	v_cvt_f32_f16_e32 v24, v12
	v_cvt_f64_f32_e32 v[12:13], v14
	v_cvt_f32_f16_e32 v18, v28
	v_cvt_f64_f32_e32 v[16:17], v16
	v_cvt_f64_f32_e32 v[14:15], v15
	v_mul_f64 v[4:5], v[4:5], s[4:5]
	v_add_co_u32 v26, vcc_lo, v0, s20
	v_cvt_f64_f32_e32 v[18:19], v18
	v_add_co_ci_u32_e32 v27, vcc_lo, s21, v1, vcc_lo
	v_mul_f64 v[6:7], v[6:7], s[4:5]
	v_cvt_f32_f16_e32 v22, v30
	v_cvt_f64_f32_e32 v[20:21], v20
	v_add_co_u32 v28, vcc_lo, v26, s20
	v_mul_f64 v[8:9], v[8:9], s[4:5]
	v_add_co_ci_u32_e32 v29, vcc_lo, s21, v27, vcc_lo
	v_mul_f64 v[10:11], v[10:11], s[4:5]
	v_and_or_b32 v2, 0x1ff, v3, v2
	v_cvt_f64_f32_e32 v[22:23], v22
	v_cvt_f64_f32_e32 v[24:25], v24
	v_mul_f64 v[12:13], v[12:13], s[4:5]
	v_lshrrev_b32_e32 v30, 8, v3
	v_cmp_ne_u32_e32 vcc_lo, 0, v2
	v_mul_f64 v[14:15], v[14:15], s[4:5]
	v_and_or_b32 v4, 0x1ff, v5, v4
	v_mul_f64 v[16:17], v[16:17], s[4:5]
	v_bfe_u32 v31, v3, 20, 11
	v_cndmask_b32_e64 v2, 0, 1, vcc_lo
	v_mul_f64 v[18:19], v[18:19], s[4:5]
	v_cmp_ne_u32_e32 vcc_lo, 0, v4
	v_and_or_b32 v6, 0x1ff, v7, v6
	v_lshrrev_b32_e32 v32, 8, v5
	v_mul_f64 v[20:21], v[20:21], s[4:5]
	v_bfe_u32 v33, v5, 20, 11
	v_cndmask_b32_e64 v4, 0, 1, vcc_lo
	v_and_or_b32 v8, 0x1ff, v9, v8
	v_cmp_ne_u32_e32 vcc_lo, 0, v6
	v_and_or_b32 v2, 0xffe, v30, v2
	v_and_or_b32 v10, 0x1ff, v11, v10
	v_lshrrev_b32_e32 v34, 8, v7
	v_mul_f64 v[22:23], v[22:23], s[4:5]
	v_cndmask_b32_e64 v6, 0, 1, vcc_lo
	v_cmp_ne_u32_e32 vcc_lo, 0, v8
	v_and_or_b32 v12, 0x1ff, v13, v12
	v_mul_f64 v[24:25], v[24:25], s[4:5]
	v_and_or_b32 v14, 0x1ff, v15, v14
	v_bfe_u32 v35, v7, 20, 11
	v_cndmask_b32_e64 v8, 0, 1, vcc_lo
	v_cmp_ne_u32_e32 vcc_lo, 0, v10
	v_and_or_b32 v16, 0x1ff, v17, v16
	v_and_or_b32 v18, 0x1ff, v19, v18
	v_bfe_u32 v37, v9, 20, 11
	v_sub_nc_u32_e32 v54, 0x3f1, v31
	v_cndmask_b32_e64 v10, 0, 1, vcc_lo
	v_cmp_ne_u32_e32 vcc_lo, 0, v12
	v_and_or_b32 v20, 0x1ff, v21, v20
	v_add_nc_u32_e32 v31, 0xfffffc10, v31
	v_sub_nc_u32_e32 v55, 0x3f1, v33
	v_and_or_b32 v4, 0xffe, v32, v4
	v_cndmask_b32_e64 v12, 0, 1, vcc_lo
	v_cmp_ne_u32_e32 vcc_lo, 0, v14
	v_lshrrev_b32_e32 v36, 8, v9
	v_and_or_b32 v22, 0x1ff, v23, v22
	v_bfe_u32 v39, v11, 20, 11
	v_bfe_u32 v41, v13, 20, 11
	v_cndmask_b32_e64 v14, 0, 1, vcc_lo
	v_cmp_ne_u32_e32 vcc_lo, 0, v16
	v_and_or_b32 v24, 0x1ff, v25, v24
	v_add_nc_u32_e32 v33, 0xfffffc10, v33
	v_sub_nc_u32_e32 v56, 0x3f1, v35
	v_sub_nc_u32_e32 v57, 0x3f1, v37
	v_cndmask_b32_e64 v16, 0, 1, vcc_lo
	v_cmp_ne_u32_e32 vcc_lo, 0, v18
	v_med3_i32 v30, v54, 0, 13
	v_med3_i32 v32, v55, 0, 13
	v_and_or_b32 v6, 0xffe, v34, v6
	v_or_b32_e32 v54, 0x1000, v2
	v_cndmask_b32_e64 v18, 0, 1, vcc_lo
	v_cmp_ne_u32_e32 vcc_lo, 0, v20
	v_lshl_or_b32 v55, v31, 12, v2
	v_lshrrev_b32_e32 v38, 8, v11
	v_lshrrev_b32_e32 v40, 8, v13
	v_bfe_u32 v43, v15, 20, 11
	v_cndmask_b32_e64 v20, 0, 1, vcc_lo
	v_cmp_ne_u32_e32 vcc_lo, 0, v22
	v_bfe_u32 v45, v17, 20, 11
	v_add_nc_u32_e32 v35, 0xfffffc10, v35
	v_sub_nc_u32_e32 v58, 0x3f1, v39
	v_sub_nc_u32_e32 v59, 0x3f1, v41
	v_cndmask_b32_e64 v22, 0, 1, vcc_lo
	v_cmp_ne_u32_e32 vcc_lo, 0, v24
	v_med3_i32 v34, v56, 0, 13
	v_and_or_b32 v8, 0xffe, v36, v8
	v_med3_i32 v36, v57, 0, 13
	v_or_b32_e32 v56, 0x1000, v4
	v_cndmask_b32_e64 v24, 0, 1, vcc_lo
	v_cmp_ne_u32_e32 vcc_lo, 0, v2
	v_lshl_or_b32 v57, v33, 12, v4
	v_lshrrev_b32_e32 v42, 8, v15
	v_lshrrev_b32_e32 v44, 8, v17
	v_bfe_u32 v47, v19, 20, 11
	v_cndmask_b32_e64 v2, 0, 1, vcc_lo
	v_cmp_ne_u32_e32 vcc_lo, 0, v4
	v_bfe_u32 v49, v21, 20, 11
	v_add_nc_u32_e32 v37, 0xfffffc10, v37
	v_sub_nc_u32_e32 v60, 0x3f1, v43
	v_sub_nc_u32_e32 v61, 0x3f1, v45
	v_cndmask_b32_e64 v4, 0, 1, vcc_lo
	v_cmp_ne_u32_e32 vcc_lo, 0, v6
	v_and_or_b32 v10, 0xffe, v38, v10
	v_med3_i32 v38, v58, 0, 13
	v_and_or_b32 v12, 0xffe, v40, v12
	v_med3_i32 v40, v59, 0, 13
	v_or_b32_e32 v58, 0x1000, v6
	v_lshl_or_b32 v59, v35, 12, v6
	v_cndmask_b32_e64 v6, 0, 1, vcc_lo
	v_cmp_ne_u32_e32 vcc_lo, 0, v8
	v_lshrrev_b32_e32 v46, 8, v19
	v_lshrrev_b32_e32 v48, 8, v21
	v_bfe_u32 v51, v23, 20, 11
	v_bfe_u32 v53, v25, 20, 11
	v_add_nc_u32_e32 v39, 0xfffffc10, v39
	v_sub_nc_u32_e32 v62, 0x3f1, v47
	v_sub_nc_u32_e32 v63, 0x3f1, v49
	v_and_or_b32 v14, 0xffe, v42, v14
	v_med3_i32 v42, v60, 0, 13
	v_and_or_b32 v16, 0xffe, v44, v16
	v_med3_i32 v44, v61, 0, 13
	v_or_b32_e32 v60, 0x1000, v8
	v_lshl_or_b32 v61, v37, 12, v8
	v_cndmask_b32_e64 v8, 0, 1, vcc_lo
	v_cmp_ne_u32_e32 vcc_lo, 0, v10
	v_lshrrev_b32_e32 v50, 8, v23
	v_lshrrev_b32_e32 v52, 8, v25
	v_add_nc_u32_e32 v41, 0xfffffc10, v41
	v_sub_nc_u32_e32 v64, 0x3f1, v51
	v_sub_nc_u32_e32 v65, 0x3f1, v53
	v_and_or_b32 v18, 0xffe, v46, v18
	v_med3_i32 v46, v62, 0, 13
	v_and_or_b32 v20, 0xffe, v48, v20
	v_med3_i32 v48, v63, 0, 13
	v_or_b32_e32 v62, 0x1000, v10
	v_lshl_or_b32 v63, v39, 12, v10
	v_cndmask_b32_e64 v10, 0, 1, vcc_lo
	v_cmp_ne_u32_e32 vcc_lo, 0, v12
	v_add_nc_u32_e32 v43, 0xfffffc10, v43
	v_and_or_b32 v22, 0xffe, v50, v22
	v_med3_i32 v50, v64, 0, 13
	v_and_or_b32 v24, 0xffe, v52, v24
	v_med3_i32 v52, v65, 0, 13
	v_or_b32_e32 v64, 0x1000, v12
	v_lshl_or_b32 v65, v41, 12, v12
	v_cndmask_b32_e64 v12, 0, 1, vcc_lo
	v_cmp_ne_u32_e32 vcc_lo, 0, v14
	v_add_nc_u32_e32 v45, 0xfffffc10, v45
	v_or_b32_e32 v66, 0x1000, v14
	v_lshl_or_b32 v67, v43, 12, v14
	v_add_nc_u32_e32 v47, 0xfffffc10, v47
	v_cndmask_b32_e64 v14, 0, 1, vcc_lo
	v_cmp_ne_u32_e32 vcc_lo, 0, v16
	v_or_b32_e32 v68, 0x1000, v16
	v_lshl_or_b32 v69, v45, 12, v16
	v_lshrrev_b32_e32 v77, v30, v54
	v_add_nc_u32_e32 v49, 0xfffffc10, v49
	v_cndmask_b32_e64 v16, 0, 1, vcc_lo
	v_cmp_ne_u32_e32 vcc_lo, 0, v18
	v_or_b32_e32 v70, 0x1000, v18
	v_lshl_or_b32 v71, v47, 12, v18
	v_lshrrev_b32_e32 v78, v32, v56
	v_lshlrev_b32_e32 v30, v30, v77
	v_cndmask_b32_e64 v18, 0, 1, vcc_lo
	v_cmp_ne_u32_e32 vcc_lo, 0, v20
	v_or_b32_e32 v72, 0x1000, v20
	v_lshl_or_b32 v73, v49, 12, v20
	v_lshrrev_b32_e32 v79, v34, v58
	v_lshlrev_b32_e32 v32, v32, v78
	v_cndmask_b32_e64 v20, 0, 1, vcc_lo
	v_cmp_ne_u32_e32 vcc_lo, v30, v54
	v_lshrrev_b32_e32 v80, v36, v60
	v_lshlrev_b32_e32 v34, v34, v79
	v_lshrrev_b32_e32 v81, v38, v62
	v_lshrrev_b32_e32 v82, v40, v64
	v_cndmask_b32_e64 v30, 0, 1, vcc_lo
	v_cmp_ne_u32_e32 vcc_lo, v32, v56
	v_lshlrev_b32_e32 v36, v36, v80
	v_lshlrev_b32_e32 v38, v38, v81
	v_lshrrev_b32_e32 v83, v42, v66
	v_lshlrev_b32_e32 v40, v40, v82
	v_cndmask_b32_e64 v32, 0, 1, vcc_lo
	v_cmp_ne_u32_e32 vcc_lo, v34, v58
	v_lshrrev_b32_e32 v84, v44, v68
	v_lshlrev_b32_e32 v42, v42, v83
	v_lshrrev_b32_e32 v85, v46, v70
	v_or_b32_e32 v74, 0x1000, v22
	v_cndmask_b32_e64 v34, 0, 1, vcc_lo
	v_cmp_ne_u32_e32 vcc_lo, v36, v60
	v_lshlrev_b32_e32 v44, v44, v84
	v_lshrrev_b32_e32 v86, v48, v72
	v_lshlrev_b32_e32 v46, v46, v85
	v_or_b32_e32 v76, 0x1000, v24
	v_cndmask_b32_e64 v36, 0, 1, vcc_lo
	v_cmp_ne_u32_e32 vcc_lo, v38, v62
	v_lshrrev_b32_e32 v87, v50, v74
	v_lshlrev_b32_e32 v48, v48, v86
	v_lshrrev_b32_e32 v88, v52, v76
	v_or_b32_e32 v30, v77, v30
	v_cndmask_b32_e64 v38, 0, 1, vcc_lo
	v_cmp_ne_u32_e32 vcc_lo, v40, v64
	v_lshlrev_b32_e32 v50, v50, v87
	v_lshlrev_b32_e32 v52, v52, v88
	v_or_b32_e32 v32, v78, v32
	v_or_b32_e32 v34, v79, v34
	v_cndmask_b32_e64 v40, 0, 1, vcc_lo
	v_cmp_ne_u32_e32 vcc_lo, v42, v66
	v_or_b32_e32 v36, v80, v36
	v_or_b32_e32 v38, v81, v38
	v_add_nc_u32_e32 v51, 0xfffffc10, v51
	v_or_b32_e32 v40, v82, v40
	v_cndmask_b32_e64 v42, 0, 1, vcc_lo
	v_cmp_ne_u32_e32 vcc_lo, v44, v68
	v_lshl_or_b32 v2, v2, 9, 0x7c00
	v_lshl_or_b32 v75, v51, 12, v22
	;; [unrolled: 1-line block ×3, first 2 shown]
	v_or_b32_e32 v42, v83, v42
	v_cndmask_b32_e64 v44, 0, 1, vcc_lo
	v_cmp_ne_u32_e32 vcc_lo, v46, v70
	v_lshl_or_b32 v6, v6, 9, 0x7c00
	v_lshl_or_b32 v8, v8, 9, 0x7c00
	;; [unrolled: 1-line block ×3, first 2 shown]
	v_or_b32_e32 v44, v84, v44
	v_cndmask_b32_e64 v46, 0, 1, vcc_lo
	v_cmp_ne_u32_e32 vcc_lo, v48, v72
	v_lshrrev_b32_e32 v3, 16, v3
	v_lshl_or_b32 v12, v12, 9, 0x7c00
	v_lshrrev_b32_e32 v5, 16, v5
	v_or_b32_e32 v46, v85, v46
	v_cndmask_b32_e64 v48, 0, 1, vcc_lo
	v_cmp_ne_u32_e32 vcc_lo, v50, v74
	v_lshl_or_b32 v14, v14, 9, 0x7c00
	v_lshrrev_b32_e32 v7, 16, v7
	v_lshl_or_b32 v16, v16, 9, 0x7c00
	v_or_b32_e32 v48, v86, v48
	v_cndmask_b32_e64 v50, 0, 1, vcc_lo
	v_cmp_ne_u32_e32 vcc_lo, v52, v76
	v_lshrrev_b32_e32 v9, 16, v9
	v_lshl_or_b32 v18, v18, 9, 0x7c00
	v_lshrrev_b32_e32 v11, 16, v11
	v_or_b32_e32 v50, v87, v50
	v_cndmask_b32_e64 v52, 0, 1, vcc_lo
	v_cmp_gt_i32_e32 vcc_lo, 1, v31
	v_add_nc_u32_e32 v53, 0xfffffc10, v53
	v_lshrrev_b32_e32 v15, 16, v15
	v_lshrrev_b32_e32 v13, 16, v13
	;; [unrolled: 1-line block ×3, first 2 shown]
	v_cndmask_b32_e32 v30, v55, v30, vcc_lo
	v_cmp_gt_i32_e32 vcc_lo, 1, v33
	v_lshrrev_b32_e32 v19, 16, v19
	v_and_b32_e32 v54, 7, v30
	v_cndmask_b32_e32 v32, v57, v32, vcc_lo
	v_cmp_gt_i32_e32 vcc_lo, 1, v35
	v_lshrrev_b32_e32 v30, 2, v30
	v_cmp_eq_u32_e64 s0, 3, v54
	v_and_b32_e32 v55, 7, v32
	v_cndmask_b32_e32 v34, v59, v34, vcc_lo
	v_cmp_gt_i32_e32 vcc_lo, 1, v37
	v_lshrrev_b32_e32 v32, 2, v32
	v_cmp_lt_i32_e64 s1, 5, v55
	v_and_b32_e32 v56, 7, v34
	v_cndmask_b32_e32 v36, v61, v36, vcc_lo
	v_cmp_gt_i32_e32 vcc_lo, 1, v39
	v_cmp_eq_u32_e64 s2, 3, v55
	v_lshrrev_b32_e32 v34, 2, v34
	v_cmp_lt_i32_e64 s3, 5, v56
	v_and_b32_e32 v57, 7, v36
	v_cndmask_b32_e32 v38, v63, v38, vcc_lo
	v_cmp_gt_i32_e32 vcc_lo, 1, v41
	v_cmp_eq_u32_e64 s4, 3, v56
	v_lshrrev_b32_e32 v36, 2, v36
	v_cmp_lt_i32_e64 s5, 5, v57
	v_and_b32_e32 v58, 7, v38
	v_cndmask_b32_e32 v40, v65, v40, vcc_lo
	v_cmp_gt_i32_e32 vcc_lo, 1, v43
	v_cmp_eq_u32_e64 s6, 3, v57
	v_lshrrev_b32_e32 v38, 2, v38
	v_cmp_lt_i32_e64 s7, 5, v58
	v_and_b32_e32 v59, 7, v40
	v_cndmask_b32_e32 v42, v67, v42, vcc_lo
	v_cmp_gt_i32_e32 vcc_lo, 1, v45
	v_cmp_eq_u32_e64 s8, 3, v58
	v_lshrrev_b32_e32 v40, 2, v40
	v_cmp_lt_i32_e64 s9, 5, v59
	v_and_b32_e32 v60, 7, v42
	v_cndmask_b32_e32 v44, v69, v44, vcc_lo
	v_cmp_gt_i32_e32 vcc_lo, 1, v47
	v_cmp_eq_u32_e64 s10, 3, v59
	v_lshrrev_b32_e32 v42, 2, v42
	v_cmp_lt_i32_e64 s11, 5, v60
	v_and_b32_e32 v61, 7, v44
	v_cndmask_b32_e32 v46, v71, v46, vcc_lo
	v_cmp_gt_i32_e32 vcc_lo, 1, v49
	v_cmp_eq_u32_e64 s12, 3, v60
	v_lshrrev_b32_e32 v44, 2, v44
	v_cmp_lt_i32_e64 s13, 5, v61
	v_and_b32_e32 v62, 7, v46
	v_cndmask_b32_e32 v48, v73, v48, vcc_lo
	v_cmp_gt_i32_e32 vcc_lo, 1, v51
	v_cmp_eq_u32_e64 s14, 3, v61
	v_lshrrev_b32_e32 v46, 2, v46
	v_cmp_lt_i32_e64 s15, 5, v62
	v_and_b32_e32 v63, 7, v48
	v_cndmask_b32_e32 v50, v75, v50, vcc_lo
	v_cmp_lt_i32_e32 vcc_lo, 5, v54
	v_cmp_eq_u32_e64 s16, 3, v62
	v_lshrrev_b32_e32 v48, 2, v48
	v_cmp_lt_i32_e64 s17, 5, v63
	v_cmp_eq_u32_e64 s18, 3, v63
	s_or_b32 vcc_lo, s0, vcc_lo
	v_add_co_ci_u32_e32 v30, vcc_lo, 0, v30, vcc_lo
	s_or_b32 vcc_lo, s2, s1
	v_cmp_gt_i32_e64 s1, 1, v53
	v_add_co_ci_u32_e32 v32, vcc_lo, 0, v32, vcc_lo
	s_or_b32 vcc_lo, s4, s3
	v_add_co_ci_u32_e32 v34, vcc_lo, 0, v34, vcc_lo
	s_or_b32 vcc_lo, s6, s5
	;; [unrolled: 2-line block ×8, first 2 shown]
	v_add_co_ci_u32_e32 v48, vcc_lo, 0, v48, vcc_lo
	v_cmp_gt_i32_e32 vcc_lo, 31, v31
	v_cndmask_b32_e32 v30, 0x7c00, v30, vcc_lo
	v_cmp_gt_i32_e32 vcc_lo, 31, v33
	v_cndmask_b32_e32 v32, 0x7c00, v32, vcc_lo
	v_cmp_gt_i32_e32 vcc_lo, 31, v35
	v_cndmask_b32_e32 v34, 0x7c00, v34, vcc_lo
	v_cmp_gt_i32_e32 vcc_lo, 31, v37
	v_cndmask_b32_e32 v36, 0x7c00, v36, vcc_lo
	v_cmp_gt_i32_e32 vcc_lo, 31, v39
	v_cndmask_b32_e32 v38, 0x7c00, v38, vcc_lo
	v_cmp_gt_i32_e32 vcc_lo, 31, v41
	v_cndmask_b32_e32 v40, 0x7c00, v40, vcc_lo
	v_cmp_gt_i32_e32 vcc_lo, 31, v43
	v_cndmask_b32_e32 v42, 0x7c00, v42, vcc_lo
	v_cmp_gt_i32_e32 vcc_lo, 31, v45
	v_cndmask_b32_e32 v44, 0x7c00, v44, vcc_lo
	v_cmp_gt_i32_e32 vcc_lo, 31, v47
	v_cndmask_b32_e32 v46, 0x7c00, v46, vcc_lo
	v_cmp_eq_u32_e32 vcc_lo, 0x40f, v31
	v_cndmask_b32_e32 v2, v30, v2, vcc_lo
	v_cmp_eq_u32_e32 vcc_lo, 0x40f, v33
	v_and_or_b32 v2, 0x8000, v3, v2
	v_cndmask_b32_e32 v4, v32, v4, vcc_lo
	v_cmp_eq_u32_e32 vcc_lo, 0x40f, v35
	v_and_b32_e32 v2, 0xffff, v2
	v_and_or_b32 v3, 0x8000, v5, v4
	v_cndmask_b32_e32 v6, v34, v6, vcc_lo
	v_cmp_eq_u32_e32 vcc_lo, 0x40f, v37
	v_lshl_or_b32 v2, v3, 16, v2
	v_and_or_b32 v4, 0x8000, v7, v6
	v_cndmask_b32_e32 v8, v36, v8, vcc_lo
	v_cmp_eq_u32_e32 vcc_lo, 0x40f, v39
	global_store_dword v[0:1], v2, off
	v_and_b32_e32 v4, 0xffff, v4
	v_and_or_b32 v5, 0x8000, v9, v8
	v_cndmask_b32_e32 v10, v38, v10, vcc_lo
	v_cmp_eq_u32_e32 vcc_lo, 0x40f, v41
	v_and_b32_e32 v0, 7, v50
	v_or_b32_e32 v2, v88, v52
	v_and_or_b32 v6, 0x8000, v11, v10
	v_cndmask_b32_e32 v12, v40, v12, vcc_lo
	v_cmp_eq_u32_e32 vcc_lo, 0x40f, v43
	v_lshl_or_b32 v10, v5, 16, v4
	v_lshl_or_b32 v4, v53, 12, v24
	v_cmp_eq_u32_e64 s0, 3, v0
	v_lshl_or_b32 v5, v20, 9, 0x7c00
	v_cndmask_b32_e32 v14, v42, v14, vcc_lo
	v_cmp_eq_u32_e32 vcc_lo, 0x40f, v45
	v_and_or_b32 v7, 0x8000, v13, v12
	v_and_b32_e32 v6, 0xffff, v6
	v_and_or_b32 v8, 0x8000, v15, v14
	v_cndmask_b32_e32 v16, v44, v16, vcc_lo
	v_cmp_eq_u32_e32 vcc_lo, 0x40f, v47
	v_lshl_or_b32 v6, v7, 16, v6
	v_and_b32_e32 v8, 0xffff, v8
	v_and_or_b32 v9, 0x8000, v17, v16
	v_cndmask_b32_e32 v18, v46, v18, vcc_lo
	v_cmp_gt_i32_e32 vcc_lo, 31, v49
	v_lshl_or_b32 v7, v9, 16, v8
	v_and_or_b32 v3, 0x8000, v19, v18
	v_cndmask_b32_e32 v1, 0x7c00, v48, vcc_lo
	v_cmp_lt_i32_e32 vcc_lo, 5, v0
	v_cndmask_b32_e64 v0, v4, v2, s1
	v_lshrrev_b32_e32 v2, 2, v50
	v_cmp_eq_u32_e64 s1, 0x40f, v49
	v_lshrrev_b32_e32 v4, 16, v21
	s_or_b32 vcc_lo, s0, vcc_lo
	v_and_b32_e32 v3, 0xffff, v3
	v_add_co_ci_u32_e32 v2, vcc_lo, 0, v2, vcc_lo
	v_cndmask_b32_e64 v1, v1, v5, s1
	v_and_b32_e32 v5, 7, v0
	v_cmp_ne_u32_e32 vcc_lo, 0, v22
	v_lshrrev_b32_e32 v0, 2, v0
	v_cmp_gt_i32_e64 s1, 31, v51
	v_and_or_b32 v4, 0x8000, v4, v1
	v_cmp_eq_u32_e64 s0, 3, v5
	v_cndmask_b32_e64 v8, 0, 1, vcc_lo
	v_cmp_lt_i32_e32 vcc_lo, 5, v5
	v_cndmask_b32_e64 v2, 0x7c00, v2, s1
	v_lshl_or_b32 v9, v4, 16, v3
	v_lshl_or_b32 v5, v8, 9, 0x7c00
	s_or_b32 vcc_lo, s0, vcc_lo
	v_add_co_ci_u32_e32 v0, vcc_lo, 0, v0, vcc_lo
	v_cmp_ne_u32_e32 vcc_lo, 0, v24
	v_cndmask_b32_e64 v8, 0, 1, vcc_lo
	v_cmp_eq_u32_e32 vcc_lo, 0x40f, v51
	v_lshl_or_b32 v8, v8, 9, 0x7c00
	v_cndmask_b32_e32 v2, v2, v5, vcc_lo
	v_cmp_gt_i32_e32 vcc_lo, 31, v53
	v_lshrrev_b32_e32 v5, 16, v23
	v_cndmask_b32_e32 v0, 0x7c00, v0, vcc_lo
	v_cmp_eq_u32_e32 vcc_lo, 0x40f, v53
	v_and_or_b32 v2, 0x8000, v5, v2
	v_cndmask_b32_e32 v5, v0, v8, vcc_lo
	v_lshrrev_b32_e32 v8, 16, v25
	v_add_co_u32 v0, vcc_lo, v28, s20
	v_add_co_ci_u32_e32 v1, vcc_lo, s21, v29, vcc_lo
	v_and_or_b32 v4, 0x8000, v8, v5
	v_and_b32_e32 v5, 0xffff, v2
	v_add_co_u32 v2, vcc_lo, v0, s20
	v_add_co_ci_u32_e32 v3, vcc_lo, s21, v1, vcc_lo
	v_lshl_or_b32 v8, v4, 16, v5
	v_add_co_u32 v4, vcc_lo, v2, s20
	v_add_co_ci_u32_e32 v5, vcc_lo, s21, v3, vcc_lo
	global_store_dword v[26:27], v10, off
	global_store_dword v[28:29], v6, off
	;; [unrolled: 1-line block ×5, first 2 shown]
.LBB0_31:
	s_endpgm
	.section	.rodata,"a",@progbits
	.p2align	6, 0x0
	.amdhsa_kernel bluestein_single_back_len1080_dim1_half_op_CI_CI
		.amdhsa_group_segment_fixed_size 8640
		.amdhsa_private_segment_fixed_size 0
		.amdhsa_kernarg_size 104
		.amdhsa_user_sgpr_count 6
		.amdhsa_user_sgpr_private_segment_buffer 1
		.amdhsa_user_sgpr_dispatch_ptr 0
		.amdhsa_user_sgpr_queue_ptr 0
		.amdhsa_user_sgpr_kernarg_segment_ptr 1
		.amdhsa_user_sgpr_dispatch_id 0
		.amdhsa_user_sgpr_flat_scratch_init 0
		.amdhsa_user_sgpr_private_segment_size 0
		.amdhsa_wavefront_size32 1
		.amdhsa_uses_dynamic_stack 0
		.amdhsa_system_sgpr_private_segment_wavefront_offset 0
		.amdhsa_system_sgpr_workgroup_id_x 1
		.amdhsa_system_sgpr_workgroup_id_y 0
		.amdhsa_system_sgpr_workgroup_id_z 0
		.amdhsa_system_sgpr_workgroup_info 0
		.amdhsa_system_vgpr_workitem_id 0
		.amdhsa_next_free_vgpr 94
		.amdhsa_next_free_sgpr 22
		.amdhsa_reserve_vcc 1
		.amdhsa_reserve_flat_scratch 0
		.amdhsa_float_round_mode_32 0
		.amdhsa_float_round_mode_16_64 0
		.amdhsa_float_denorm_mode_32 3
		.amdhsa_float_denorm_mode_16_64 3
		.amdhsa_dx10_clamp 1
		.amdhsa_ieee_mode 1
		.amdhsa_fp16_overflow 0
		.amdhsa_workgroup_processor_mode 1
		.amdhsa_memory_ordered 1
		.amdhsa_forward_progress 0
		.amdhsa_shared_vgpr_count 0
		.amdhsa_exception_fp_ieee_invalid_op 0
		.amdhsa_exception_fp_denorm_src 0
		.amdhsa_exception_fp_ieee_div_zero 0
		.amdhsa_exception_fp_ieee_overflow 0
		.amdhsa_exception_fp_ieee_underflow 0
		.amdhsa_exception_fp_ieee_inexact 0
		.amdhsa_exception_int_div_zero 0
	.end_amdhsa_kernel
	.text
.Lfunc_end0:
	.size	bluestein_single_back_len1080_dim1_half_op_CI_CI, .Lfunc_end0-bluestein_single_back_len1080_dim1_half_op_CI_CI
                                        ; -- End function
	.section	.AMDGPU.csdata,"",@progbits
; Kernel info:
; codeLenInByte = 18532
; NumSgprs: 24
; NumVgprs: 94
; ScratchSize: 0
; MemoryBound: 0
; FloatMode: 240
; IeeeMode: 1
; LDSByteSize: 8640 bytes/workgroup (compile time only)
; SGPRBlocks: 2
; VGPRBlocks: 11
; NumSGPRsForWavesPerEU: 24
; NumVGPRsForWavesPerEU: 94
; Occupancy: 10
; WaveLimiterHint : 1
; COMPUTE_PGM_RSRC2:SCRATCH_EN: 0
; COMPUTE_PGM_RSRC2:USER_SGPR: 6
; COMPUTE_PGM_RSRC2:TRAP_HANDLER: 0
; COMPUTE_PGM_RSRC2:TGID_X_EN: 1
; COMPUTE_PGM_RSRC2:TGID_Y_EN: 0
; COMPUTE_PGM_RSRC2:TGID_Z_EN: 0
; COMPUTE_PGM_RSRC2:TIDIG_COMP_CNT: 0
	.text
	.p2alignl 6, 3214868480
	.fill 48, 4, 3214868480
	.type	__hip_cuid_2e3d5a0e826360b0,@object ; @__hip_cuid_2e3d5a0e826360b0
	.section	.bss,"aw",@nobits
	.globl	__hip_cuid_2e3d5a0e826360b0
__hip_cuid_2e3d5a0e826360b0:
	.byte	0                               ; 0x0
	.size	__hip_cuid_2e3d5a0e826360b0, 1

	.ident	"AMD clang version 19.0.0git (https://github.com/RadeonOpenCompute/llvm-project roc-6.4.0 25133 c7fe45cf4b819c5991fe208aaa96edf142730f1d)"
	.section	".note.GNU-stack","",@progbits
	.addrsig
	.addrsig_sym __hip_cuid_2e3d5a0e826360b0
	.amdgpu_metadata
---
amdhsa.kernels:
  - .args:
      - .actual_access:  read_only
        .address_space:  global
        .offset:         0
        .size:           8
        .value_kind:     global_buffer
      - .actual_access:  read_only
        .address_space:  global
        .offset:         8
        .size:           8
        .value_kind:     global_buffer
      - .actual_access:  read_only
        .address_space:  global
        .offset:         16
        .size:           8
        .value_kind:     global_buffer
      - .actual_access:  read_only
        .address_space:  global
        .offset:         24
        .size:           8
        .value_kind:     global_buffer
      - .actual_access:  read_only
        .address_space:  global
        .offset:         32
        .size:           8
        .value_kind:     global_buffer
      - .offset:         40
        .size:           8
        .value_kind:     by_value
      - .address_space:  global
        .offset:         48
        .size:           8
        .value_kind:     global_buffer
      - .address_space:  global
        .offset:         56
        .size:           8
        .value_kind:     global_buffer
      - .address_space:  global
        .offset:         64
        .size:           8
        .value_kind:     global_buffer
      - .address_space:  global
        .offset:         72
        .size:           8
        .value_kind:     global_buffer
      - .offset:         80
        .size:           4
        .value_kind:     by_value
      - .address_space:  global
        .offset:         88
        .size:           8
        .value_kind:     global_buffer
      - .address_space:  global
        .offset:         96
        .size:           8
        .value_kind:     global_buffer
    .group_segment_fixed_size: 8640
    .kernarg_segment_align: 8
    .kernarg_segment_size: 104
    .language:       OpenCL C
    .language_version:
      - 2
      - 0
    .max_flat_workgroup_size: 216
    .name:           bluestein_single_back_len1080_dim1_half_op_CI_CI
    .private_segment_fixed_size: 0
    .sgpr_count:     24
    .sgpr_spill_count: 0
    .symbol:         bluestein_single_back_len1080_dim1_half_op_CI_CI.kd
    .uniform_work_group_size: 1
    .uses_dynamic_stack: false
    .vgpr_count:     94
    .vgpr_spill_count: 0
    .wavefront_size: 32
    .workgroup_processor_mode: 1
amdhsa.target:   amdgcn-amd-amdhsa--gfx1030
amdhsa.version:
  - 1
  - 2
...

	.end_amdgpu_metadata
